;; amdgpu-corpus repo=ROCm/rocFFT kind=compiled arch=gfx1030 opt=O3
	.text
	.amdgcn_target "amdgcn-amd-amdhsa--gfx1030"
	.amdhsa_code_object_version 6
	.protected	fft_rtc_back_len289_factors_17_17_wgs_119_tpt_17_dp_op_CI_CI_sbrc_xy_z_unaligned_dirReg ; -- Begin function fft_rtc_back_len289_factors_17_17_wgs_119_tpt_17_dp_op_CI_CI_sbrc_xy_z_unaligned_dirReg
	.globl	fft_rtc_back_len289_factors_17_17_wgs_119_tpt_17_dp_op_CI_CI_sbrc_xy_z_unaligned_dirReg
	.p2align	8
	.type	fft_rtc_back_len289_factors_17_17_wgs_119_tpt_17_dp_op_CI_CI_sbrc_xy_z_unaligned_dirReg,@function
fft_rtc_back_len289_factors_17_17_wgs_119_tpt_17_dp_op_CI_CI_sbrc_xy_z_unaligned_dirReg: ; @fft_rtc_back_len289_factors_17_17_wgs_119_tpt_17_dp_op_CI_CI_sbrc_xy_z_unaligned_dirReg
; %bb.0:
	s_clause 0x1
	s_load_dwordx4 s[0:3], s[4:5], 0x10
	s_load_dwordx2 s[22:23], s[4:5], 0x20
	s_waitcnt lgkmcnt(0)
	s_load_dwordx4 s[8:11], s[0:1], 0x8
	s_clause 0x1
	s_load_dwordx4 s[12:15], s[2:3], 0x0
	s_load_dwordx2 s[16:17], s[2:3], 0x10
	s_waitcnt lgkmcnt(0)
	s_add_i32 s0, s10, -1
	s_mul_hi_u32 s1, s0, 0x24924925
	s_sub_i32 s0, s0, s1
	s_lshr_b32 s0, s0, 1
	s_add_i32 s0, s0, s1
	s_lshr_b32 s0, s0, 2
	s_add_i32 s0, s0, 1
	s_mul_i32 s0, s0, s8
	v_cvt_f32_u32_e32 v1, s0
	s_sub_i32 s7, 0, s0
	v_rcp_iflag_f32_e32 v1, v1
	v_mul_f32_e32 v1, 0x4f7ffffe, v1
	v_cvt_u32_f32_e32 v1, v1
	v_readfirstlane_b32 s1, v1
	v_cvt_f32_u32_e32 v1, s8
	s_mul_i32 s7, s7, s1
	s_mul_hi_u32 s7, s1, s7
	s_add_i32 s1, s1, s7
	s_mul_hi_u32 s1, s6, s1
	s_mul_i32 s7, s1, s0
	s_add_i32 s11, s1, 1
	s_sub_i32 s7, s6, s7
	s_sub_i32 s15, s7, s0
	s_cmp_ge_u32 s7, s0
	s_cselect_b32 s1, s11, s1
	s_cselect_b32 s7, s15, s7
	s_add_i32 s11, s1, 1
	s_cmp_ge_u32 s7, s0
	s_mov_b32 s7, 0
	s_cselect_b32 s33, s11, s1
	s_mov_b32 s19, s7
	s_mul_i32 s0, s33, s0
	s_sub_i32 s18, s6, s0
	v_cmp_lt_u64_e64 s0, s[18:19], s[8:9]
	s_and_b32 vcc_lo, exec_lo, s0
	s_mov_b64 s[0:1], 0
	s_cbranch_vccnz .LBB0_2
; %bb.1:
	v_rcp_iflag_f32_e32 v2, v1
	s_sub_i32 s1, 0, s8
	v_mul_f32_e32 v2, 0x4f7ffffe, v2
	v_cvt_u32_f32_e32 v2, v2
	v_readfirstlane_b32 s0, v2
	s_mul_i32 s1, s1, s0
	s_mul_hi_u32 s1, s0, s1
	s_add_i32 s0, s0, s1
	s_mul_hi_u32 s0, s18, s0
	s_mul_i32 s1, s0, s8
	s_add_i32 s11, s0, 1
	s_sub_i32 s1, s18, s1
	s_sub_i32 s15, s1, s8
	s_cmp_ge_u32 s1, s8
	s_cselect_b32 s0, s11, s0
	s_cselect_b32 s1, s15, s1
	s_add_i32 s11, s0, 1
	s_cmp_ge_u32 s1, s8
	s_cselect_b32 s0, s11, s0
.LBB0_2:
	s_load_dwordx2 s[18:19], s[4:5], 0x58
	v_cmp_lt_u64_e64 s1, s[6:7], s[8:9]
	s_and_b32 vcc_lo, exec_lo, s1
	s_cbranch_vccnz .LBB0_4
; %bb.3:
	v_rcp_iflag_f32_e32 v1, v1
	s_sub_i32 s7, 0, s8
	v_mul_f32_e32 v1, 0x4f7ffffe, v1
	v_cvt_u32_f32_e32 v1, v1
	v_readfirstlane_b32 s1, v1
	s_mul_i32 s7, s7, s1
	s_mul_hi_u32 s7, s1, s7
	s_add_i32 s1, s1, s7
	s_mul_hi_u32 s1, s6, s1
	s_mul_i32 s1, s1, s8
	s_sub_i32 s1, s6, s1
	s_sub_i32 s6, s1, s8
	s_cmp_ge_u32 s1, s8
	s_cselect_b32 s1, s6, s1
	s_sub_i32 s6, s1, s8
	s_cmp_ge_u32 s1, s8
	s_cselect_b32 s6, s6, s1
.LBB0_4:
	s_load_dwordx2 s[8:9], s[4:5], 0x8
	s_mul_i32 s64, s0, 7
	s_mul_i32 s7, s6, s14
	;; [unrolled: 1-line block ×3, first 2 shown]
	s_add_i32 s7, s7, s11
	s_mov_b32 s11, -1
	s_waitcnt lgkmcnt(0)
	s_lshl_b64 s[0:1], s[8:9], 3
	s_add_u32 s2, s2, s0
	s_addc_u32 s3, s3, s1
	s_load_dwordx2 s[2:3], s[2:3], 0x0
	s_waitcnt lgkmcnt(0)
	s_mul_i32 s3, s3, s33
	s_mul_hi_u32 s8, s2, s33
	s_mul_i32 s2, s2, s33
	s_add_i32 s8, s8, s3
	s_add_u32 s20, s2, s7
	s_addc_u32 s21, s8, 0
	s_add_u32 s8, s22, s0
	s_addc_u32 s9, s23, s1
	s_clause 0x2
	s_load_dwordx4 s[0:3], s[22:23], 0x0
	s_load_dwordx2 s[14:15], s[22:23], 0x10
	s_load_dwordx2 s[8:9], s[8:9], 0x0
	s_waitcnt lgkmcnt(0)
	s_add_i32 s3, s64, 7
	s_mov_b32 s7, 0
	s_cmp_le_u32 s3, s10
	s_cselect_b32 s3, -1, 0
	s_and_b32 vcc_lo, exec_lo, s3
	s_cbranch_vccnz .LBB0_8
; %bb.5:
	s_lshl_b64 s[22:23], s[20:21], 4
	v_mov_b32_e32 v2, 0
	v_mov_b32_e32 v3, 0xe2c5
	;; [unrolled: 1-line block ×3, first 2 shown]
	s_add_u32 s11, s18, s22
	s_addc_u32 s15, s19, s23
	s_inst_prefetch 0x1
	.p2align	6
.LBB0_6:                                ; =>This Inner Loop Header: Depth=1
	v_mul_u32_u24_sdwa v1, v4, v3 dst_sel:DWORD dst_unused:UNUSED_PAD src0_sel:WORD_0 src1_sel:DWORD
	v_lshrrev_b32_e32 v9, 24, v1
	v_mul_lo_u16 v1, 0x121, v9
	v_sub_nc_u16 v10, v4, v1
	v_add_nc_u32_e32 v4, 0x77, v4
	v_and_b32_e32 v7, 0xffff, v10
	v_mad_u64_u32 v[5:6], null, s12, v7, 0
	v_mov_b32_e32 v1, v6
	v_mad_u64_u32 v[6:7], null, s13, v7, v[1:2]
	v_mul_lo_u32 v1, s16, v9
	v_lshlrev_b64 v[5:6], 4, v[5:6]
	v_lshlrev_b64 v[7:8], 4, v[1:2]
	v_add_co_u32 v1, vcc_lo, s11, v5
	v_add_co_ci_u32_e32 v6, vcc_lo, s15, v6, vcc_lo
	v_add_co_u32 v5, vcc_lo, v1, v7
	v_add_co_ci_u32_e32 v6, vcc_lo, v6, v8, vcc_lo
	v_mad_u16 v1, v10, 7, v9
	v_cmp_lt_u32_e32 vcc_lo, 0x7e6, v4
	global_load_dwordx4 v[5:8], v[5:6], off
	v_and_b32_e32 v1, 0xffff, v1
	s_or_b32 s7, vcc_lo, s7
	v_lshl_add_u32 v1, v1, 4, 0
	s_waitcnt vmcnt(0)
	ds_write_b128 v1, v[5:8]
	s_andn2_b32 exec_lo, exec_lo, s7
	s_cbranch_execnz .LBB0_6
; %bb.7:
	s_inst_prefetch 0x2
	s_or_b32 exec_lo, exec_lo, s7
	s_mov_b32 s11, 0
.LBB0_8:
	v_and_b32_e32 v1, 0xffff, v0
	s_and_b32 vcc_lo, exec_lo, s11
	s_cbranch_vccz .LBB0_10
; %bb.9:
	v_add_nc_u16 v4, v0, 0xee
	v_mov_b32_e32 v25, 0xe3
	v_add_nc_u16 v6, v0, 0x165
	v_add_nc_u16 v7, v0, 0x77
	s_lshl_b64 s[20:21], s[20:21], 4
	v_mov_b32_e32 v18, 0
	v_mul_u32_u24_sdwa v2, v4, v25 dst_sel:DWORD dst_unused:UNUSED_PAD src0_sel:WORD_0 src1_sel:DWORD
	v_mul_u32_u24_sdwa v5, v6, v25 dst_sel:DWORD dst_unused:UNUSED_PAD src0_sel:WORD_0 src1_sel:DWORD
	v_and_b32_e32 v11, 0xffff, v7
	s_add_u32 s7, s18, s20
	s_addc_u32 s11, s19, s21
	v_lshrrev_b32_e32 v19, 16, v2
	v_lshrrev_b32_e32 v20, 16, v5
	v_mad_u64_u32 v[2:3], null, s12, v1, 0
	v_add_nc_u16 v26, v0, 0x341
	v_mul_lo_u16 v5, 0x121, v19
	v_mul_lo_u16 v7, 0x121, v20
	v_mul_lo_u32 v17, s16, v19
	v_add_nc_u16 v27, v0, 0x3b8
	v_mov_b32_e32 v28, 0x717
	v_sub_nc_u16 v21, v4, v5
	v_mad_u64_u32 v[4:5], null, s12, v11, 0
	v_sub_nc_u16 v22, v6, v7
	v_add_nc_u16 v29, v0, 0x42f
	v_and_b32_e32 v13, 0xffff, v21
	v_add_nc_u16 v30, v0, 0x4a6
	v_add_nc_u16 v31, v0, 0x51d
	v_and_b32_e32 v15, 0xffff, v22
	v_mad_u64_u32 v[6:7], null, s13, v1, v[3:4]
	v_mad_u64_u32 v[7:8], null, s12, v13, 0
	v_mov_b32_e32 v1, v5
	v_mad_u64_u32 v[9:10], null, s12, v15, 0
	v_add_nc_u16 v32, v0, 0x594
	v_mov_b32_e32 v3, v6
	v_mad_u64_u32 v[5:6], null, s13, v11, v[1:2]
	v_mov_b32_e32 v1, v8
	v_lshlrev_b64 v[11:12], 4, v[17:18]
	v_mov_b32_e32 v6, v10
	v_mul_lo_u32 v17, s16, v20
	v_add_nc_u16 v33, v0, 0x60b
	v_mad_u64_u32 v[13:14], null, s13, v13, v[1:2]
	v_mad_u64_u32 v[14:15], null, s13, v15, v[6:7]
	v_lshlrev_b64 v[1:2], 4, v[2:3]
	v_lshlrev_b64 v[3:4], 4, v[4:5]
	;; [unrolled: 1-line block ×3, first 2 shown]
	v_add_nc_u16 v17, v0, 0x1dc
	v_mov_b32_e32 v8, v13
	v_add_nc_u16 v34, v0, 0x682
	v_mov_b32_e32 v10, v14
	v_add_co_u32 v1, vcc_lo, s7, v1
	v_lshlrev_b64 v[5:6], 4, v[7:8]
	v_add_co_ci_u32_e32 v2, vcc_lo, s11, v2, vcc_lo
	v_add_co_u32 v3, vcc_lo, s7, v3
	v_lshlrev_b64 v[7:8], 4, v[9:10]
	v_add_co_ci_u32_e32 v4, vcc_lo, s11, v4, vcc_lo
	v_add_co_u32 v5, vcc_lo, s7, v5
	v_add_co_ci_u32_e32 v6, vcc_lo, s11, v6, vcc_lo
	v_add_co_u32 v7, vcc_lo, s7, v7
	;; [unrolled: 2-line block ×4, first 2 shown]
	v_add_co_ci_u32_e32 v24, vcc_lo, v8, v16, vcc_lo
	s_clause 0x3
	global_load_dwordx4 v[13:16], v[1:2], off
	global_load_dwordx4 v[9:12], v[3:4], off
	;; [unrolled: 1-line block ×4, first 2 shown]
	v_add_nc_u16 v23, v0, 0x253
	v_add_nc_u16 v24, v0, 0x2ca
	;; [unrolled: 1-line block ×4, first 2 shown]
	v_mul_u32_u24_sdwa v37, v17, v25 dst_sel:DWORD dst_unused:UNUSED_PAD src0_sel:WORD_0 src1_sel:DWORD
	v_mul_u32_u24_sdwa v38, v23, v25 dst_sel:DWORD dst_unused:UNUSED_PAD src0_sel:WORD_0 src1_sel:DWORD
	;; [unrolled: 1-line block ×13, first 2 shown]
	v_lshrrev_b32_e32 v75, 16, v37
	v_lshrrev_b32_e32 v76, 16, v38
	;; [unrolled: 1-line block ×7, first 2 shown]
	v_mul_lo_u16 v25, 0x121, v75
	v_mul_lo_u16 v28, 0x121, v76
	v_lshrrev_b32_e32 v84, 19, v45
	v_mul_lo_u16 v37, 0x121, v77
	v_lshrrev_b32_e32 v79, 19, v40
	v_lshrrev_b32_e32 v81, 19, v42
	v_lshrrev_b32_e32 v85, 19, v46
	v_lshrrev_b32_e32 v86, 19, v47
	v_mul_lo_u16 v40, 0x121, v80
	v_mul_lo_u16 v42, 0x121, v82
	v_sub_nc_u16 v88, v17, v25
	v_sub_nc_u16 v89, v23, v28
	v_mul_lo_u16 v17, 0x121, v84
	v_sub_nc_u16 v90, v24, v37
	v_mul_lo_u16 v38, 0x121, v78
	v_mul_lo_u16 v23, 0x121, v85
	;; [unrolled: 1-line block ×4, first 2 shown]
	v_sub_nc_u16 v93, v29, v40
	v_sub_nc_u16 v95, v31, v42
	v_and_b32_e32 v29, 0xffff, v88
	v_and_b32_e32 v31, 0xffff, v89
	v_mul_lo_u16 v39, 0x121, v79
	v_sub_nc_u16 v97, v33, v17
	v_and_b32_e32 v33, 0xffff, v90
	v_sub_nc_u16 v91, v26, v38
	v_sub_nc_u16 v98, v34, v23
	;; [unrolled: 1-line block ×4, first 2 shown]
	v_mad_u64_u32 v[23:24], null, s12, v29, 0
	v_mad_u64_u32 v[25:26], null, s12, v31, 0
	v_mul_lo_u16 v41, 0x121, v81
	v_sub_nc_u16 v92, v27, v39
	v_mad_u64_u32 v[27:28], null, s12, v33, 0
	v_lshrrev_b32_e32 v83, 19, v44
	v_sub_nc_u16 v94, v30, v41
	v_mad_u64_u32 v[29:30], null, s13, v29, v[24:25]
	v_mul_lo_u32 v17, s16, v75
	v_mul_lo_u16 v43, 0x121, v83
	v_mov_b32_e32 v24, v28
	v_and_b32_e32 v47, 0xffff, v91
	v_and_b32_e32 v48, 0xffff, v92
	v_mad_u64_u32 v[30:31], null, s13, v31, v[26:27]
	v_mad_u64_u32 v[33:34], null, s13, v33, v[24:25]
	v_mov_b32_e32 v24, v29
	v_sub_nc_u16 v96, v32, v43
	v_mad_u64_u32 v[35:36], null, s12, v47, 0
	v_lshlrev_b64 v[31:32], 4, v[17:18]
	v_mul_lo_u32 v17, s16, v76
	v_mad_u64_u32 v[37:38], null, s12, v48, 0
	v_lshlrev_b64 v[23:24], 4, v[23:24]
	v_mov_b32_e32 v26, v30
	v_mov_b32_e32 v29, v36
	;; [unrolled: 1-line block ×3, first 2 shown]
	v_and_b32_e32 v49, 0xffff, v93
	v_lshlrev_b64 v[33:34], 4, v[17:18]
	v_mul_lo_u32 v17, s16, v77
	v_add_co_u32 v36, vcc_lo, s7, v23
	v_mov_b32_e32 v30, v38
	v_add_co_ci_u32_e32 v38, vcc_lo, s11, v24, vcc_lo
	v_lshlrev_b64 v[23:24], 4, v[25:26]
	v_and_b32_e32 v50, 0xffff, v94
	v_and_b32_e32 v51, 0xffff, v95
	v_add_co_u32 v25, vcc_lo, v36, v31
	v_lshlrev_b64 v[27:28], 4, v[27:28]
	v_add_co_ci_u32_e32 v26, vcc_lo, v38, v32, vcc_lo
	v_lshlrev_b64 v[31:32], 4, v[17:18]
	v_add_co_u32 v17, vcc_lo, s7, v23
	v_mad_u64_u32 v[39:40], null, s12, v49, 0
	v_and_b32_e32 v52, 0xffff, v96
	v_mad_u64_u32 v[41:42], null, s12, v50, 0
	v_mad_u64_u32 v[43:44], null, s12, v51, 0
	v_add_co_ci_u32_e32 v23, vcc_lo, s11, v24, vcc_lo
	v_add_co_u32 v24, vcc_lo, s7, v27
	v_add_co_ci_u32_e32 v36, vcc_lo, s11, v28, vcc_lo
	v_add_co_u32 v27, vcc_lo, v17, v33
	v_mad_u64_u32 v[45:46], null, s12, v52, 0
	v_add_co_ci_u32_e32 v28, vcc_lo, v23, v34, vcc_lo
	v_mov_b32_e32 v17, v40
	v_add_co_u32 v31, vcc_lo, v24, v31
	v_mov_b32_e32 v23, v42
	v_mov_b32_e32 v24, v44
	v_and_b32_e32 v58, 0xffff, v97
	v_mad_u64_u32 v[33:34], null, s13, v47, v[29:30]
	v_mad_u64_u32 v[29:30], null, s13, v48, v[30:31]
	;; [unrolled: 1-line block ×3, first 2 shown]
	v_mov_b32_e32 v17, v46
	v_mad_u64_u32 v[48:49], null, s13, v50, v[23:24]
	v_mad_u64_u32 v[49:50], null, s12, v58, 0
	v_and_b32_e32 v34, 0xffff, v98
	v_mad_u64_u32 v[23:24], null, s13, v51, v[24:25]
	v_mad_u64_u32 v[51:52], null, s13, v52, v[17:18]
	;; [unrolled: 1-line block ×3, first 2 shown]
	v_and_b32_e32 v46, 0xffff, v99
	v_and_b32_e32 v59, 0xffff, v100
	v_mov_b32_e32 v17, v50
	v_mov_b32_e32 v38, v29
	v_add_co_ci_u32_e32 v32, vcc_lo, v36, v32, vcc_lo
	v_mad_u64_u32 v[54:55], null, s12, v46, 0
	v_mad_u64_u32 v[56:57], null, s12, v59, 0
	;; [unrolled: 1-line block ×3, first 2 shown]
	v_mov_b32_e32 v17, v53
	v_mov_b32_e32 v36, v33
	;; [unrolled: 1-line block ×5, first 2 shown]
	v_mad_u64_u32 v[33:34], null, s13, v34, v[17:18]
	v_mov_b32_e32 v17, v57
	v_mad_u64_u32 v[47:48], null, s13, v46, v[24:25]
	v_lshlrev_b64 v[35:36], 4, v[35:36]
	v_mov_b32_e32 v50, v29
	v_mad_u64_u32 v[57:58], null, s13, v59, v[17:18]
	v_mul_lo_u32 v17, s16, v78
	v_mov_b32_e32 v53, v33
	v_mov_b32_e32 v46, v51
	v_add_co_u32 v51, vcc_lo, s7, v35
	v_lshlrev_b64 v[37:38], 4, v[37:38]
	v_mov_b32_e32 v55, v47
	v_lshlrev_b64 v[47:48], 4, v[49:50]
	v_lshlrev_b64 v[49:50], 4, v[52:53]
	v_add_co_ci_u32_e32 v52, vcc_lo, s11, v36, vcc_lo
	v_lshlrev_b64 v[35:36], 4, v[17:18]
	v_mul_lo_u32 v17, s16, v79
	v_lshlrev_b64 v[39:40], 4, v[39:40]
	v_add_co_u32 v53, vcc_lo, s7, v37
	v_lshlrev_b64 v[58:59], 4, v[54:55]
	v_add_co_ci_u32_e32 v54, vcc_lo, s11, v38, vcc_lo
	v_add_co_u32 v35, vcc_lo, v51, v35
	v_lshlrev_b64 v[37:38], 4, v[17:18]
	v_mul_lo_u32 v17, s16, v80
	v_add_co_ci_u32_e32 v36, vcc_lo, v52, v36, vcc_lo
	v_add_co_u32 v51, vcc_lo, s7, v39
	v_lshlrev_b64 v[41:42], 4, v[41:42]
	v_add_co_ci_u32_e32 v52, vcc_lo, s11, v40, vcc_lo
	v_add_co_u32 v39, vcc_lo, v53, v37
	v_mov_b32_e32 v44, v23
	v_add_co_ci_u32_e32 v40, vcc_lo, v54, v38, vcc_lo
	v_lshlrev_b64 v[37:38], 4, v[17:18]
	v_mul_lo_u32 v17, s16, v81
	v_add_co_u32 v41, vcc_lo, s7, v41
	v_lshlrev_b64 v[43:44], 4, v[43:44]
	v_add_co_ci_u32_e32 v42, vcc_lo, s11, v42, vcc_lo
	v_add_co_u32 v51, vcc_lo, v51, v37
	v_add_co_ci_u32_e32 v52, vcc_lo, v52, v38, vcc_lo
	v_lshlrev_b64 v[37:38], 4, v[17:18]
	v_mul_lo_u32 v17, s16, v82
	v_add_co_u32 v43, vcc_lo, s7, v43
	v_lshlrev_b64 v[45:46], 4, v[45:46]
	v_add_co_ci_u32_e32 v44, vcc_lo, s11, v44, vcc_lo
	v_add_co_u32 v53, vcc_lo, v41, v37
	v_add_co_ci_u32_e32 v54, vcc_lo, v42, v38, vcc_lo
	v_lshlrev_b64 v[37:38], 4, v[17:18]
	v_mul_lo_u32 v17, s16, v83
	v_add_co_u32 v41, vcc_lo, s7, v45
	v_add_co_ci_u32_e32 v42, vcc_lo, s11, v46, vcc_lo
	v_add_co_u32 v60, vcc_lo, v43, v37
	v_add_co_ci_u32_e32 v61, vcc_lo, v44, v38, vcc_lo
	v_lshlrev_b64 v[37:38], 4, v[17:18]
	v_mul_lo_u32 v17, s16, v84
	v_add_co_u32 v43, vcc_lo, s7, v47
	v_add_co_ci_u32_e32 v44, vcc_lo, s11, v48, vcc_lo
	v_add_co_u32 v62, vcc_lo, v41, v37
	v_add_co_ci_u32_e32 v63, vcc_lo, v42, v38, vcc_lo
	v_lshlrev_b64 v[37:38], 4, v[17:18]
	v_mul_lo_u32 v17, s16, v85
	s_clause 0x2
	global_load_dwordx4 v[23:26], v[25:26], off
	global_load_dwordx4 v[27:30], v[27:28], off
	;; [unrolled: 1-line block ×3, first 2 shown]
	v_add_co_u32 v55, vcc_lo, s7, v49
	v_add_co_ci_u32_e32 v68, vcc_lo, s11, v50, vcc_lo
	v_add_co_u32 v64, vcc_lo, v43, v37
	v_lshlrev_b64 v[66:67], 4, v[17:18]
	v_mul_lo_u32 v17, s16, v86
	v_add_co_ci_u32_e32 v65, vcc_lo, v44, v38, vcc_lo
	s_clause 0x4
	global_load_dwordx4 v[35:38], v[35:36], off
	global_load_dwordx4 v[39:42], v[39:40], off
	;; [unrolled: 1-line block ×5, first 2 shown]
	v_add_co_u32 v66, vcc_lo, v55, v66
	v_lshlrev_b64 v[55:56], 4, v[56:57]
	v_lshlrev_b64 v[60:61], 4, v[17:18]
	v_mul_lo_u32 v17, s16, v87
	v_add_co_ci_u32_e32 v67, vcc_lo, v68, v67, vcc_lo
	v_add_co_u32 v57, vcc_lo, s7, v58
	v_add_co_ci_u32_e32 v58, vcc_lo, s11, v59, vcc_lo
	v_add_co_u32 v55, vcc_lo, s7, v55
	v_lshlrev_b64 v[17:18], 4, v[17:18]
	v_add_co_ci_u32_e32 v56, vcc_lo, s11, v56, vcc_lo
	v_add_co_u32 v68, vcc_lo, v57, v60
	v_add_co_ci_u32_e32 v69, vcc_lo, v58, v61, vcc_lo
	v_add_co_u32 v17, vcc_lo, v55, v17
	v_add_co_ci_u32_e32 v18, vcc_lo, v56, v18, vcc_lo
	s_clause 0x4
	global_load_dwordx4 v[55:58], v[62:63], off
	global_load_dwordx4 v[59:62], v[64:65], off
	;; [unrolled: 1-line block ×5, first 2 shown]
	v_mul_lo_u16 v17, v0, 7
	v_mad_u16 v18, v0, 7, 0x341
	v_mad_u16 v19, v21, 7, v19
	;; [unrolled: 1-line block ×4, first 2 shown]
	v_and_b32_e32 v17, 0xffff, v17
	v_and_b32_e32 v18, 0xffff, v18
	;; [unrolled: 1-line block ×3, first 2 shown]
	v_mad_u16 v22, v89, 7, v76
	v_and_b32_e32 v20, 0xffff, v20
	v_lshl_add_u32 v17, v17, 4, 0
	v_lshl_add_u32 v18, v18, 4, 0
	v_mad_u16 v75, v90, 7, v77
	s_waitcnt vmcnt(16)
	ds_write_b128 v17, v[13:16]
	v_lshl_add_u32 v13, v19, 4, 0
	s_waitcnt vmcnt(15)
	ds_write_b128 v18, v[9:12]
	v_and_b32_e32 v9, 0xffff, v21
	v_and_b32_e32 v10, 0xffff, v22
	v_lshl_add_u32 v12, v20, 4, 0
	v_and_b32_e32 v11, 0xffff, v75
	s_waitcnt vmcnt(14)
	ds_write_b128 v13, v[5:8]
	v_lshl_add_u32 v5, v9, 4, 0
	v_lshl_add_u32 v6, v10, 4, 0
	s_waitcnt vmcnt(13)
	ds_write_b128 v12, v[1:4]
	v_mad_u16 v1, v91, 7, v78
	v_lshl_add_u32 v7, v11, 4, 0
	v_mad_u16 v2, v92, 7, v79
	v_mad_u16 v3, v93, 7, v80
	;; [unrolled: 1-line block ×3, first 2 shown]
	v_and_b32_e32 v1, 0xffff, v1
	s_waitcnt vmcnt(12)
	ds_write_b128 v5, v[23:26]
	s_waitcnt vmcnt(11)
	ds_write_b128 v6, v[27:30]
	;; [unrolled: 2-line block ×3, first 2 shown]
	v_mad_u16 v5, v95, 7, v82
	v_and_b32_e32 v2, 0xffff, v2
	v_and_b32_e32 v3, 0xffff, v3
	;; [unrolled: 1-line block ×3, first 2 shown]
	v_lshl_add_u32 v1, v1, 4, 0
	v_and_b32_e32 v5, 0xffff, v5
	v_lshl_add_u32 v2, v2, 4, 0
	v_lshl_add_u32 v3, v3, 4, 0
	;; [unrolled: 1-line block ×4, first 2 shown]
	s_waitcnt vmcnt(9)
	ds_write_b128 v1, v[35:38]
	s_waitcnt vmcnt(8)
	ds_write_b128 v2, v[39:42]
	;; [unrolled: 2-line block ×5, first 2 shown]
	v_mad_u16 v1, v96, 7, v83
	v_mad_u16 v2, v97, 7, v84
	;; [unrolled: 1-line block ×5, first 2 shown]
	v_and_b32_e32 v1, 0xffff, v1
	v_and_b32_e32 v2, 0xffff, v2
	;; [unrolled: 1-line block ×5, first 2 shown]
	v_lshl_add_u32 v1, v1, 4, 0
	v_lshl_add_u32 v2, v2, 4, 0
	;; [unrolled: 1-line block ×5, first 2 shown]
	s_waitcnt vmcnt(4)
	ds_write_b128 v1, v[55:58]
	s_waitcnt vmcnt(3)
	ds_write_b128 v2, v[59:62]
	;; [unrolled: 2-line block ×5, first 2 shown]
.LBB0_10:
	v_mov_b32_e32 v1, 0x2493
	v_mul_hi_u32 v109, 0x24924925, v0
	s_waitcnt lgkmcnt(0)
	s_barrier
	buffer_gl0_inv
	v_mul_u32_u24_sdwa v1, v0, v1 dst_sel:DWORD dst_unused:UNUSED_PAD src0_sel:WORD_0 src1_sel:DWORD
	s_mov_b32 s54, 0x5d8e7cdc
	s_mov_b32 s12, 0x370991
	;; [unrolled: 1-line block ×4, first 2 shown]
	v_lshrrev_b32_e32 v1, 16, v1
	s_mov_b32 s13, 0x3fedd6d0
	s_mov_b32 s39, 0xbfeec746
	;; [unrolled: 1-line block ×4, first 2 shown]
	v_mul_lo_u16 v1, v1, 7
	s_mov_b32 s28, 0xc61f0d01
	s_mov_b32 s53, 0xbfe58eea
	;; [unrolled: 1-line block ×4, first 2 shown]
	v_sub_nc_u16 v1, v0, v1
	s_mov_b32 s31, 0x3fd71e95
	s_mov_b32 s30, s54
	;; [unrolled: 1-line block ×4, first 2 shown]
	v_and_b32_e32 v107, 0xffff, v1
	v_mul_u32_u24_e32 v1, 0x70, v109
	s_mov_b32 s42, 0xeb564b22
	s_mov_b32 s36, 0x3259b75e
	;; [unrolled: 1-line block ×3, first 2 shown]
	v_lshlrev_b32_e32 v110, 4, v107
	s_mov_b32 s24, 0x4363dd80
	s_mov_b32 s22, 0xacd6c6b4
	;; [unrolled: 1-line block ×4, first 2 shown]
	v_add3_u32 v108, 0, v1, v110
	s_mov_b32 s16, 0x7faef3
	s_mov_b32 s49, 0xbfeca52d
	;; [unrolled: 1-line block ×4, first 2 shown]
	ds_read_b128 v[1:4], v108
	ds_read_b128 v[5:8], v108 offset:1904
	ds_read_b128 v[9:12], v108 offset:3808
	;; [unrolled: 1-line block ×11, first 2 shown]
	s_mov_b32 s37, 0x3fb79ee6
	s_mov_b32 s35, 0xbfe9895b
	;; [unrolled: 1-line block ×13, first 2 shown]
	s_waitcnt lgkmcnt(10)
	v_add_f64 v[17:18], v[1:2], v[5:6]
	v_add_f64 v[19:20], v[3:4], v[7:8]
	s_mov_b32 s51, 0x3fe0d888
	s_mov_b32 s63, 0x3fc7851a
	s_waitcnt lgkmcnt(4)
	v_add_f64 v[27:28], v[81:82], v[85:86]
	s_waitcnt lgkmcnt(1)
	v_add_f64 v[31:32], v[89:90], v[93:94]
	v_add_f64 v[41:42], v[91:92], v[95:96]
	v_add_f64 v[29:30], v[89:90], -v[93:94]
	v_add_f64 v[43:44], v[91:92], -v[95:96]
	v_add_f64 v[33:34], v[83:84], v[87:88]
	v_add_f64 v[25:26], v[81:82], -v[85:86]
	v_add_f64 v[35:36], v[83:84], -v[87:88]
	s_waitcnt lgkmcnt(0)
	v_add_f64 v[39:40], v[65:66], v[97:98]
	v_add_f64 v[49:50], v[67:68], v[99:100]
	v_add_f64 v[37:38], v[65:66], -v[97:98]
	v_add_f64 v[51:52], v[67:68], -v[99:100]
	s_mov_b32 s40, s48
	s_mov_b32 s60, s42
	s_mov_b32 s44, s38
	s_mov_b32 s58, s34
	s_mov_b32 s50, s24
	s_mov_b32 s62, s22
	v_add_f64 v[17:18], v[17:18], v[9:10]
	v_add_f64 v[19:20], v[19:20], v[11:12]
	s_mov_b32 s7, 0
	v_mul_f64 v[187:188], v[41:42], s[18:19]
	v_mul_f64 v[209:210], v[41:42], s[36:37]
	;; [unrolled: 1-line block ×13, first 2 shown]
	v_add_f64 v[17:18], v[17:18], v[13:14]
	v_add_f64 v[19:20], v[19:20], v[15:16]
	;; [unrolled: 1-line block ×4, first 2 shown]
	ds_read_b128 v[17:20], v108 offset:30464
	ds_read_b128 v[101:104], v108 offset:22848
	;; [unrolled: 1-line block ×3, first 2 shown]
	s_waitcnt lgkmcnt(2)
	v_add_f64 v[105:106], v[7:8], -v[19:20]
	v_add_f64 v[69:70], v[21:22], v[53:54]
	v_add_f64 v[71:72], v[23:24], v[55:56]
	;; [unrolled: 1-line block ×3, first 2 shown]
	ds_read_b128 v[115:118], v108 offset:26656
	ds_read_b128 v[21:24], v108 offset:28560
	s_waitcnt lgkmcnt(3)
	v_add_f64 v[47:48], v[53:54], v[101:102]
	v_add_f64 v[57:58], v[55:56], v[103:104]
	v_add_f64 v[45:46], v[53:54], -v[101:102]
	v_add_f64 v[59:60], v[55:56], -v[103:104]
	s_waitcnt lgkmcnt(2)
	v_add_f64 v[53:54], v[61:62], v[111:112]
	v_add_f64 v[55:56], v[61:62], -v[111:112]
	s_waitcnt lgkmcnt(0)
	s_barrier
	buffer_gl0_inv
	v_mul_f64 v[125:126], v[105:106], s[38:39]
	v_add_f64 v[119:120], v[69:70], v[65:66]
	v_add_f64 v[121:122], v[71:72], v[67:68]
	;; [unrolled: 1-line block ×4, first 2 shown]
	v_add_f64 v[79:80], v[11:12], -v[23:24]
	v_add_f64 v[69:70], v[9:10], -v[21:22]
	v_add_f64 v[9:10], v[5:6], v[17:18]
	v_add_f64 v[5:6], v[5:6], -v[17:18]
	v_mul_f64 v[11:12], v[105:106], s[54:55]
	v_add_f64 v[65:66], v[63:64], v[113:114]
	v_add_f64 v[67:68], v[63:64], -v[113:114]
	v_add_f64 v[63:64], v[13:14], v[115:116]
	v_add_f64 v[73:74], v[15:16], v[117:118]
	v_add_f64 v[61:62], v[13:14], -v[115:116]
	v_add_f64 v[75:76], v[15:16], -v[117:118]
	v_mul_f64 v[13:14], v[105:106], s[52:53]
	v_mul_f64 v[15:16], v[105:106], s[48:49]
	;; [unrolled: 1-line block ×7, first 2 shown]
	v_add_f64 v[89:90], v[119:120], v[89:90]
	v_add_f64 v[91:92], v[121:122], v[91:92]
	v_mul_f64 v[121:122], v[7:8], s[12:13]
	v_mul_f64 v[143:144], v[77:78], s[46:47]
	v_mul_f64 v[141:142], v[79:80], s[52:53]
	v_mul_f64 v[119:120], v[105:106], s[24:25]
	v_fma_f64 v[223:224], v[9:10], s[28:29], v[125:126]
	v_mul_f64 v[105:106], v[105:106], s[22:23]
	v_fma_f64 v[215:216], v[9:10], s[12:13], v[11:12]
	v_mul_f64 v[135:136], v[7:8], s[28:29]
	v_mul_f64 v[137:138], v[7:8], s[26:27]
	;; [unrolled: 1-line block ×7, first 2 shown]
	v_fma_f64 v[11:12], v[9:10], s[12:13], -v[11:12]
	v_fma_f64 v[217:218], v[9:10], s[46:47], v[13:14]
	v_mul_f64 v[149:150], v[67:68], s[42:43]
	v_mul_f64 v[169:170], v[75:76], s[34:35]
	v_fma_f64 v[13:14], v[9:10], s[46:47], -v[13:14]
	v_fma_f64 v[219:220], v[9:10], s[18:19], v[15:16]
	v_add_f64 v[81:82], v[89:90], v[81:82]
	v_add_f64 v[83:84], v[91:92], v[83:84]
	v_fma_f64 v[15:16], v[9:10], s[18:19], -v[15:16]
	v_fma_f64 v[221:222], v[9:10], s[36:37], v[123:124]
	v_fma_f64 v[231:232], v[71:72], s[46:47], v[141:142]
	v_fma_f64 v[123:124], v[9:10], s[36:37], -v[123:124]
	v_fma_f64 v[225:226], v[9:10], s[20:21], v[119:120]
	v_fma_f64 v[119:120], v[9:10], s[20:21], -v[119:120]
	v_add_f64 v[215:216], v[1:2], v[215:216]
	v_fma_f64 v[227:228], v[9:10], s[16:17], v[105:106]
	v_fma_f64 v[229:230], v[5:6], s[40:41], v[131:132]
	;; [unrolled: 1-line block ×8, first 2 shown]
	v_add_f64 v[11:12], v[1:2], v[11:12]
	v_fma_f64 v[239:240], v[71:72], s[36:37], v[165:166]
	v_add_f64 v[217:218], v[1:2], v[217:218]
	v_fma_f64 v[241:242], v[5:6], s[62:63], v[7:8]
	v_fma_f64 v[243:244], v[63:64], s[18:19], v[145:146]
	v_add_f64 v[81:82], v[81:82], v[85:86]
	v_add_f64 v[83:84], v[83:84], v[87:88]
	v_mul_f64 v[151:152], v[65:66], s[36:37]
	v_mul_f64 v[153:154], v[59:60], s[38:39]
	;; [unrolled: 1-line block ×6, first 2 shown]
	v_add_f64 v[215:216], v[231:232], v[215:216]
	v_mul_f64 v[193:194], v[77:78], s[26:27]
	v_fma_f64 v[231:232], v[53:54], s[36:37], v[149:150]
	v_fma_f64 v[145:146], v[63:64], s[18:19], -v[145:146]
	v_fma_f64 v[165:166], v[71:72], s[36:37], -v[165:166]
	v_add_f64 v[13:14], v[1:2], v[13:14]
	v_mul_f64 v[155:156], v[57:58], s[28:29]
	v_mul_f64 v[89:90], v[43:44], s[24:25]
	;; [unrolled: 1-line block ×5, first 2 shown]
	v_add_f64 v[217:218], v[239:240], v[217:218]
	v_fma_f64 v[149:150], v[53:54], s[36:37], -v[149:150]
	v_mul_f64 v[175:176], v[65:66], s[16:17]
	v_add_f64 v[81:82], v[81:82], v[93:94]
	v_add_f64 v[83:84], v[83:84], v[95:96]
	v_fma_f64 v[93:94], v[9:10], s[28:29], -v[125:126]
	v_fma_f64 v[125:126], v[5:6], s[30:31], v[121:122]
	v_fma_f64 v[121:122], v[5:6], s[54:55], v[121:122]
	;; [unrolled: 1-line block ×3, first 2 shown]
	v_fma_f64 v[127:128], v[9:10], s[26:27], -v[127:128]
	v_fma_f64 v[9:10], v[9:10], s[16:17], -v[105:106]
	v_fma_f64 v[105:106], v[5:6], s[56:57], v[129:130]
	v_fma_f64 v[129:130], v[5:6], s[52:53], v[129:130]
	v_add_f64 v[215:216], v[243:244], v[215:216]
	v_fma_f64 v[245:246], v[55:56], s[60:61], v[151:152]
	v_fma_f64 v[247:248], v[47:48], s[28:29], v[153:154]
	;; [unrolled: 1-line block ×5, first 2 shown]
	v_add_f64 v[13:14], v[165:166], v[13:14]
	v_fma_f64 v[165:166], v[69:70], s[58:59], v[193:194]
	v_mul_f64 v[177:178], v[59:60], s[50:51]
	v_mul_f64 v[87:88], v[67:68], s[44:45]
	;; [unrolled: 1-line block ×3, first 2 shown]
	v_fma_f64 v[249:250], v[45:46], s[44:45], v[155:156]
	v_add_f64 v[81:82], v[81:82], v[97:98]
	v_add_f64 v[83:84], v[83:84], v[99:100]
	v_fma_f64 v[99:100], v[69:70], s[56:57], v[143:144]
	v_add_f64 v[125:126], v[3:4], v[125:126]
	v_fma_f64 v[97:98], v[5:6], s[34:35], v[137:138]
	v_fma_f64 v[137:138], v[71:72], s[46:47], -v[141:142]
	v_fma_f64 v[141:142], v[69:70], s[52:53], v[143:144]
	v_add_f64 v[121:122], v[3:4], v[121:122]
	v_fma_f64 v[143:144], v[5:6], s[50:51], v[139:140]
	v_fma_f64 v[139:140], v[5:6], s[24:25], v[139:140]
	;; [unrolled: 1-line block ×5, first 2 shown]
	v_add_f64 v[105:106], v[3:4], v[105:106]
	v_add_f64 v[215:216], v[231:232], v[215:216]
	v_fma_f64 v[153:154], v[47:48], s[28:29], -v[153:154]
	v_fma_f64 v[167:168], v[69:70], s[42:43], v[167:168]
	v_add_f64 v[129:130], v[3:4], v[129:130]
	v_fma_f64 v[155:156], v[45:46], s[38:39], v[155:156]
	v_fma_f64 v[251:252], v[31:32], s[20:21], -v[89:90]
	v_add_f64 v[15:16], v[1:2], v[15:16]
	v_mul_f64 v[179:180], v[57:58], s[20:21]
	v_add_f64 v[81:82], v[81:82], v[101:102]
	v_add_f64 v[83:84], v[83:84], v[103:104]
	v_fma_f64 v[101:102], v[39:40], s[26:27], v[157:158]
	v_add_f64 v[99:100], v[99:100], v[125:126]
	v_fma_f64 v[125:126], v[31:32], s[20:21], v[89:90]
	;; [unrolled: 2-line block ×4, first 2 shown]
	v_fma_f64 v[89:90], v[61:62], s[58:59], v[171:172]
	v_mul_f64 v[199:200], v[59:60], s[56:57]
	v_mul_f64 v[201:202], v[57:58], s[46:47]
	v_fma_f64 v[103:104], v[37:38], s[58:59], v[159:160]
	v_add_f64 v[105:106], v[243:244], v[105:106]
	v_fma_f64 v[157:158], v[39:40], s[26:27], -v[157:158]
	v_fma_f64 v[159:160], v[37:38], s[34:35], v[159:160]
	v_fma_f64 v[171:172], v[61:62], s[34:35], v[171:172]
	v_add_f64 v[129:130], v[167:168], v[129:130]
	v_fma_f64 v[167:168], v[47:48], s[20:21], v[177:178]
	v_fma_f64 v[173:174], v[53:54], s[16:17], -v[173:174]
	v_add_f64 v[131:132], v[3:4], v[131:132]
	v_mul_f64 v[211:212], v[79:80], s[22:23]
	v_add_f64 v[81:82], v[81:82], v[111:112]
	v_add_f64 v[83:84], v[83:84], v[113:114]
	v_fma_f64 v[113:114], v[71:72], s[26:27], v[191:192]
	v_add_f64 v[7:8], v[7:8], v[99:100]
	v_fma_f64 v[99:100], v[63:64], s[26:27], v[169:170]
	v_add_f64 v[11:12], v[145:146], v[11:12]
	v_add_f64 v[145:146], v[1:2], v[219:220]
	;; [unrolled: 1-line block ×4, first 2 shown]
	v_fma_f64 v[169:170], v[63:64], s[26:27], -v[169:170]
	v_fma_f64 v[111:112], v[55:56], s[62:63], v[175:176]
	v_fma_f64 v[141:142], v[27:28], s[16:17], v[161:162]
	;; [unrolled: 1-line block ×3, first 2 shown]
	v_add_f64 v[89:90], v[89:90], v[105:106]
	v_fma_f64 v[105:106], v[53:54], s[28:29], v[87:88]
	v_fma_f64 v[175:176], v[55:56], s[22:23], v[175:176]
	v_fma_f64 v[177:178], v[47:48], s[20:21], -v[177:178]
	v_fma_f64 v[243:244], v[47:48], s[46:47], v[199:200]
	v_mul_f64 v[213:214], v[77:78], s[16:17]
	v_fma_f64 v[239:240], v[25:26], s[62:63], v[163:164]
	v_fma_f64 v[161:162], v[27:28], s[16:17], -v[161:162]
	v_fma_f64 v[163:164], v[25:26], s[22:23], v[163:164]
	v_fma_f64 v[229:230], v[37:38], s[38:39], v[183:184]
	v_add_f64 v[83:84], v[83:84], v[117:118]
	v_fma_f64 v[231:232], v[31:32], s[18:19], v[185:186]
	v_add_f64 v[7:8], v[245:246], v[7:8]
	v_add_f64 v[99:100], v[99:100], v[217:218]
	;; [unrolled: 1-line block ×4, first 2 shown]
	v_fma_f64 v[145:146], v[63:64], s[16:17], v[195:196]
	v_add_f64 v[165:166], v[165:166], v[219:220]
	v_fma_f64 v[219:220], v[61:62], s[22:23], v[85:86]
	v_add_f64 v[121:122], v[151:152], v[121:122]
	v_fma_f64 v[151:152], v[55:56], s[38:39], v[197:198]
	v_fma_f64 v[195:196], v[63:64], s[16:17], -v[195:196]
	v_add_f64 v[13:14], v[169:170], v[13:14]
	v_fma_f64 v[217:218], v[39:40], s[28:29], v[181:182]
	v_fma_f64 v[85:86], v[61:62], s[62:63], v[85:86]
	v_add_f64 v[111:112], v[111:112], v[89:90]
	v_fma_f64 v[179:180], v[45:46], s[50:51], v[179:180]
	v_fma_f64 v[181:182], v[39:40], s[28:29], -v[181:182]
	v_fma_f64 v[245:246], v[39:40], s[12:13], v[203:204]
	v_fma_f64 v[197:198], v[55:56], s[44:45], v[197:198]
	v_fma_f64 v[199:200], v[47:48], s[46:47], -v[199:200]
	v_fma_f64 v[169:170], v[71:72], s[16:17], v[211:212]
	v_add_f64 v[133:134], v[3:4], v[133:134]
	v_add_f64 v[117:118], v[3:4], v[235:236]
	v_add_f64 v[7:8], v[249:250], v[7:8]
	v_add_f64 v[91:92], v[91:92], v[99:100]
	v_fma_f64 v[99:100], v[71:72], s[26:27], -v[191:192]
	v_fma_f64 v[191:192], v[69:70], s[34:35], v[193:194]
	v_add_f64 v[193:194], v[247:248], v[215:216]
	v_add_f64 v[11:12], v[153:154], v[11:12]
	v_fma_f64 v[247:248], v[53:54], s[28:29], -v[87:88]
	v_add_f64 v[87:88], v[145:146], v[113:114]
	v_add_f64 v[165:166], v[219:220], v[165:166]
	;; [unrolled: 1-line block ×3, first 2 shown]
	v_fma_f64 v[215:216], v[45:46], s[52:53], v[201:202]
	v_add_f64 v[13:14], v[173:174], v[13:14]
	v_fma_f64 v[153:154], v[37:38], s[30:31], v[205:206]
	v_add_f64 v[145:146], v[1:2], v[221:222]
	v_add_f64 v[221:222], v[3:4], v[233:234]
	;; [unrolled: 1-line block ×7, first 2 shown]
	v_fma_f64 v[149:150], v[29:30], s[48:49], v[187:188]
	v_fma_f64 v[201:202], v[45:46], s[56:57], v[201:202]
	v_add_f64 v[7:8], v[103:104], v[7:8]
	v_add_f64 v[91:92], v[167:168], v[91:92]
	;; [unrolled: 1-line block ×16, first 2 shown]
	v_fma_f64 v[113:114], v[69:70], s[62:63], v[213:214]
	v_add_f64 v[123:124], v[1:2], v[123:124]
	v_add_f64 v[115:116], v[1:2], v[223:224]
	;; [unrolled: 1-line block ×21, first 2 shown]
	v_fma_f64 v[137:138], v[31:32], s[18:19], -v[185:186]
	v_fma_f64 v[139:140], v[31:32], s[36:37], v[207:208]
	v_mul_f64 v[143:144], v[35:36], s[24:25]
	v_mul_f64 v[159:160], v[67:68], s[30:31]
	v_fma_f64 v[157:158], v[37:38], s[54:55], v[205:206]
	v_add_f64 v[111:112], v[149:150], v[111:112]
	v_add_f64 v[113:114], v[113:114], v[221:222]
	;; [unrolled: 1-line block ×6, first 2 shown]
	v_mul_f64 v[125:126], v[75:76], s[44:45]
	v_add_f64 v[1:2], v[161:162], v[11:12]
	v_add_f64 v[9:10], v[21:22], v[17:18]
	;; [unrolled: 1-line block ×3, first 2 shown]
	v_mul_f64 v[127:128], v[73:74], s[28:29]
	v_fma_f64 v[17:18], v[27:28], s[12:13], v[189:190]
	v_mul_f64 v[21:22], v[33:34], s[12:13]
	v_add_f64 v[19:20], v[179:180], v[83:84]
	v_add_f64 v[23:24], v[181:182], v[13:14]
	v_fma_f64 v[83:84], v[37:38], s[44:45], v[183:184]
	v_add_f64 v[103:104], v[245:246], v[103:104]
	v_add_f64 v[105:106], v[153:154], v[105:106]
	v_fma_f64 v[141:142], v[29:30], s[60:61], v[209:210]
	v_mul_f64 v[147:148], v[33:34], s[20:21]
	v_fma_f64 v[153:154], v[39:40], s[12:13], -v[203:204]
	v_mul_f64 v[161:162], v[65:66], s[12:13]
	v_fma_f64 v[167:168], v[71:72], s[16:17], -v[211:212]
	v_mul_f64 v[171:172], v[59:60], s[48:49]
	v_mul_f64 v[175:176], v[75:76], s[56:57]
	v_add_f64 v[151:152], v[199:200], v[3:4]
	v_add_f64 v[3:4], v[163:164], v[119:120]
	;; [unrolled: 1-line block ×3, first 2 shown]
	v_fma_f64 v[145:146], v[63:64], s[28:29], v[125:126]
	v_add_f64 v[15:16], v[201:202], v[15:16]
	v_mul_f64 v[163:164], v[77:78], s[20:21]
	v_fma_f64 v[169:170], v[69:70], s[22:23], v[213:214]
	v_fma_f64 v[149:150], v[61:62], s[38:39], v[127:128]
	v_add_f64 v[13:14], v[17:18], v[121:122]
	v_fma_f64 v[17:18], v[25:26], s[54:55], v[21:22]
	v_mul_f64 v[121:122], v[79:80], s[50:51]
	v_add_f64 v[23:24], v[137:138], v[23:24]
	v_add_f64 v[19:20], v[83:84], v[19:20]
	v_fma_f64 v[83:84], v[29:30], s[40:41], v[187:188]
	v_fma_f64 v[137:138], v[27:28], s[12:13], -v[189:190]
	v_add_f64 v[103:104], v[139:140], v[103:104]
	v_add_f64 v[105:106], v[141:142], v[105:106]
	v_fma_f64 v[139:140], v[27:28], s[20:21], v[143:144]
	v_fma_f64 v[141:142], v[25:26], s[50:51], v[147:148]
	v_mul_f64 v[179:180], v[73:74], s[46:47]
	v_add_f64 v[123:124], v[167:168], v[123:124]
	v_fma_f64 v[125:126], v[63:64], s[28:29], -v[125:126]
	v_add_f64 v[151:152], v[153:154], v[151:152]
	v_fma_f64 v[127:128], v[61:62], s[44:45], v[127:128]
	v_fma_f64 v[165:166], v[29:30], s[42:43], v[209:210]
	v_add_f64 v[119:120], v[145:146], v[119:120]
	v_fma_f64 v[145:146], v[53:54], s[12:13], v[159:160]
	v_add_f64 v[153:154], v[157:158], v[15:16]
	v_fma_f64 v[157:158], v[31:32], s[36:37], -v[207:208]
	v_add_f64 v[113:114], v[149:150], v[113:114]
	v_fma_f64 v[149:150], v[55:56], s[54:55], v[161:162]
	v_add_f64 v[15:16], v[17:18], v[111:112]
	v_mul_f64 v[111:112], v[57:58], s[18:19]
	v_fma_f64 v[173:174], v[71:72], s[20:21], v[121:122]
	v_fma_f64 v[177:178], v[69:70], s[24:25], v[163:164]
	v_add_f64 v[19:20], v[83:84], v[19:20]
	v_fma_f64 v[83:84], v[25:26], s[30:31], v[21:22]
	v_add_f64 v[17:18], v[137:138], v[23:24]
	v_fma_f64 v[121:122], v[71:72], s[20:21], -v[121:122]
	v_fma_f64 v[137:138], v[69:70], s[50:51], v[163:164]
	v_add_f64 v[21:22], v[139:140], v[103:104]
	v_add_f64 v[23:24], v[141:142], v[105:106]
	;; [unrolled: 1-line block ×3, first 2 shown]
	v_fma_f64 v[139:140], v[47:48], s[18:19], v[171:172]
	v_mul_f64 v[141:142], v[79:80], s[44:45]
	v_mul_f64 v[163:164], v[65:66], s[18:19]
	v_add_f64 v[123:124], v[125:126], v[123:124]
	v_mul_f64 v[169:170], v[59:60], s[22:23]
	v_add_f64 v[119:120], v[145:146], v[119:120]
	v_add_f64 v[103:104], v[165:166], v[153:154]
	;; [unrolled: 1-line block ×3, first 2 shown]
	v_mul_f64 v[151:152], v[67:68], s[48:49]
	v_add_f64 v[113:114], v[149:150], v[113:114]
	v_fma_f64 v[149:150], v[63:64], s[46:47], v[175:176]
	v_fma_f64 v[145:146], v[45:46], s[40:41], v[111:112]
	v_add_f64 v[115:116], v[173:174], v[115:116]
	v_add_f64 v[117:118], v[177:178], v[117:118]
	v_fma_f64 v[157:158], v[61:62], s[52:53], v[179:180]
	v_mul_f64 v[165:166], v[51:52], s[24:25]
	v_mul_f64 v[173:174], v[57:58], s[16:17]
	v_add_f64 v[121:122], v[121:122], v[131:132]
	v_add_f64 v[131:132], v[137:138], v[135:136]
	v_fma_f64 v[135:136], v[63:64], s[46:47], -v[175:176]
	v_fma_f64 v[137:138], v[61:62], s[56:57], v[179:180]
	v_add_f64 v[125:126], v[127:128], v[133:134]
	v_fma_f64 v[127:128], v[53:54], s[12:13], -v[159:160]
	v_fma_f64 v[133:134], v[55:56], s[30:31], v[161:162]
	v_mul_f64 v[159:160], v[75:76], s[54:55]
	v_mul_f64 v[179:180], v[51:52], s[60:61]
	;; [unrolled: 1-line block ×3, first 2 shown]
	v_add_f64 v[119:120], v[139:140], v[119:120]
	v_fma_f64 v[139:140], v[71:72], s[28:29], v[141:142]
	v_mul_f64 v[153:154], v[77:78], s[28:29]
	v_mul_f64 v[161:162], v[73:74], s[12:13]
	v_fma_f64 v[141:142], v[71:72], s[28:29], -v[141:142]
	v_mul_f64 v[187:188], v[75:76], s[42:43]
	v_add_f64 v[113:114], v[145:146], v[113:114]
	v_add_f64 v[115:116], v[149:150], v[115:116]
	v_fma_f64 v[145:146], v[53:54], s[18:19], v[151:152]
	v_add_f64 v[117:118], v[157:158], v[117:118]
	v_fma_f64 v[157:158], v[55:56], s[40:41], v[163:164]
	v_mul_f64 v[189:190], v[73:74], s[36:37]
	v_mul_f64 v[75:76], v[75:76], s[24:25]
	;; [unrolled: 1-line block ×3, first 2 shown]
	v_add_f64 v[121:122], v[135:136], v[121:122]
	v_add_f64 v[131:132], v[137:138], v[131:132]
	v_fma_f64 v[135:136], v[53:54], s[18:19], -v[151:152]
	v_fma_f64 v[137:138], v[55:56], s[48:49], v[163:164]
	v_add_f64 v[123:124], v[127:128], v[123:124]
	v_add_f64 v[125:126], v[133:134], v[125:126]
	v_fma_f64 v[127:128], v[47:48], s[18:19], -v[171:172]
	v_fma_f64 v[133:134], v[63:64], s[12:13], v[159:160]
	v_fma_f64 v[151:152], v[39:40], s[20:21], v[165:166]
	v_add_f64 v[129:130], v[139:140], v[129:130]
	v_mul_f64 v[139:140], v[67:68], s[24:25]
	v_fma_f64 v[171:172], v[45:46], s[62:63], v[173:174]
	v_fma_f64 v[149:150], v[69:70], s[38:39], v[153:154]
	v_mul_f64 v[167:168], v[49:50], s[20:21]
	v_fma_f64 v[111:112], v[45:46], s[48:49], v[111:112]
	v_add_f64 v[89:90], v[141:142], v[89:90]
	v_add_f64 v[115:116], v[145:146], v[115:116]
	v_fma_f64 v[141:142], v[63:64], s[12:13], -v[159:160]
	v_add_f64 v[117:118], v[157:158], v[117:118]
	v_fma_f64 v[157:158], v[47:48], s[16:17], v[169:170]
	v_mul_f64 v[159:160], v[65:66], s[26:27]
	v_mul_f64 v[175:176], v[43:44], s[58:59]
	;; [unrolled: 1-line block ×4, first 2 shown]
	v_add_f64 v[121:122], v[135:136], v[121:122]
	v_add_f64 v[131:132], v[137:138], v[131:132]
	v_fma_f64 v[135:136], v[47:48], s[16:17], -v[169:170]
	v_fma_f64 v[137:138], v[45:46], s[22:23], v[173:174]
	v_add_f64 v[123:124], v[127:128], v[123:124]
	v_fma_f64 v[127:128], v[39:40], s[20:21], -v[165:166]
	v_mul_f64 v[165:166], v[59:60], s[60:61]
	v_add_f64 v[129:130], v[133:134], v[129:130]
	v_fma_f64 v[133:134], v[53:54], s[20:21], v[139:140]
	v_fma_f64 v[169:170], v[37:38], s[42:43], v[181:182]
	v_mul_f64 v[173:174], v[41:42], s[12:13]
	v_add_f64 v[145:146], v[149:150], v[155:156]
	v_fma_f64 v[149:150], v[61:62], s[30:31], v[161:162]
	v_mul_f64 v[155:156], v[65:66], s[20:21]
	v_mul_f64 v[65:66], v[65:66], s[46:47]
	v_fma_f64 v[163:164], v[37:38], s[50:51], v[167:168]
	v_add_f64 v[117:118], v[171:172], v[117:118]
	v_add_f64 v[115:116], v[157:158], v[115:116]
	v_fma_f64 v[157:158], v[39:40], s[36:37], v[179:180]
	v_mul_f64 v[171:172], v[43:44], s[54:55]
	v_add_f64 v[111:112], v[111:112], v[125:126]
	v_fma_f64 v[125:126], v[37:38], s[24:25], v[167:168]
	v_mul_f64 v[167:168], v[57:58], s[36:37]
	v_add_f64 v[119:120], v[151:152], v[119:120]
	v_add_f64 v[121:122], v[135:136], v[121:122]
	;; [unrolled: 1-line block ×3, first 2 shown]
	v_fma_f64 v[135:136], v[39:40], s[36:37], -v[179:180]
	v_fma_f64 v[137:138], v[37:38], s[60:61], v[181:182]
	v_add_f64 v[123:124], v[127:128], v[123:124]
	v_fma_f64 v[151:152], v[31:32], s[26:27], v[175:176]
	v_add_f64 v[127:128], v[133:134], v[129:130]
	v_fma_f64 v[129:130], v[47:48], s[36:37], v[165:166]
	v_mul_f64 v[133:134], v[51:52], s[52:53]
	v_mul_f64 v[179:180], v[35:36], s[34:35]
	v_add_f64 v[145:146], v[149:150], v[145:146]
	v_fma_f64 v[149:150], v[55:56], s[50:51], v[155:156]
	v_mul_f64 v[181:182], v[33:34], s[26:27]
	v_add_f64 v[113:114], v[163:164], v[113:114]
	v_add_f64 v[117:118], v[169:170], v[117:118]
	v_fma_f64 v[169:170], v[29:30], s[30:31], v[173:174]
	v_add_f64 v[115:116], v[157:158], v[115:116]
	v_fma_f64 v[157:158], v[31:32], s[12:13], v[171:172]
	v_fma_f64 v[163:164], v[29:30], s[34:35], v[177:178]
	v_add_f64 v[111:112], v[125:126], v[111:112]
	v_fma_f64 v[125:126], v[31:32], s[26:27], -v[175:176]
	v_mul_f64 v[175:176], v[49:50], s[46:47]
	v_fma_f64 v[177:178], v[29:30], s[58:59], v[177:178]
	v_fma_f64 v[143:144], v[27:28], s[20:21], -v[143:144]
	v_add_f64 v[121:122], v[135:136], v[121:122]
	v_add_f64 v[131:132], v[137:138], v[131:132]
	v_fma_f64 v[135:136], v[31:32], s[12:13], -v[171:172]
	v_fma_f64 v[137:138], v[29:30], s[54:55], v[173:174]
	v_mul_f64 v[171:172], v[79:80], s[40:41]
	v_mul_f64 v[173:174], v[77:78], s[18:19]
	v_add_f64 v[127:128], v[129:130], v[127:128]
	v_fma_f64 v[129:130], v[39:40], s[46:47], v[133:134]
	v_mul_f64 v[79:80], v[79:80], s[30:31]
	v_mul_f64 v[77:78], v[77:78], s[12:13]
	v_add_f64 v[145:146], v[149:150], v[145:146]
	v_fma_f64 v[149:150], v[45:46], s[42:43], v[167:168]
	v_add_f64 v[119:120], v[151:152], v[119:120]
	v_mul_f64 v[151:152], v[35:36], s[56:57]
	v_add_f64 v[117:118], v[169:170], v[117:118]
	v_add_f64 v[115:116], v[157:158], v[115:116]
	;; [unrolled: 1-line block ×3, first 2 shown]
	v_mul_f64 v[163:164], v[33:34], s[46:47]
	v_add_f64 v[123:124], v[125:126], v[123:124]
	v_fma_f64 v[157:158], v[27:28], s[26:27], v[179:180]
	v_add_f64 v[111:112], v[177:178], v[111:112]
	v_mul_f64 v[177:178], v[41:42], s[16:17]
	v_fma_f64 v[179:180], v[27:28], s[26:27], -v[179:180]
	v_fma_f64 v[169:170], v[25:26], s[58:59], v[181:182]
	v_add_f64 v[121:122], v[135:136], v[121:122]
	v_add_f64 v[131:132], v[137:138], v[131:132]
	v_fma_f64 v[135:136], v[71:72], s[18:19], v[171:172]
	v_fma_f64 v[137:138], v[69:70], s[48:49], v[173:174]
	;; [unrolled: 1-line block ×3, first 2 shown]
	v_add_f64 v[127:128], v[129:130], v[127:128]
	v_fma_f64 v[129:130], v[71:72], s[12:13], v[79:80]
	v_fma_f64 v[191:192], v[69:70], s[54:55], v[77:78]
	v_fma_f64 v[79:80], v[71:72], s[12:13], -v[79:80]
	v_fma_f64 v[77:78], v[69:70], s[30:31], v[77:78]
	v_fma_f64 v[71:72], v[71:72], s[18:19], -v[171:172]
	v_fma_f64 v[171:172], v[69:70], s[40:41], v[173:174]
	v_fma_f64 v[69:70], v[69:70], s[44:45], v[153:154]
	v_mul_f64 v[153:154], v[67:68], s[58:59]
	v_mul_f64 v[67:68], v[67:68], s[56:57]
	v_add_f64 v[125:126], v[149:150], v[145:146]
	v_fma_f64 v[145:146], v[37:38], s[56:57], v[175:176]
	v_mul_f64 v[149:150], v[43:44], s[22:23]
	v_mul_f64 v[173:174], v[33:34], s[18:19]
	v_fma_f64 v[193:194], v[29:30], s[62:63], v[177:178]
	v_fma_f64 v[183:184], v[27:28], s[46:47], v[151:152]
	;; [unrolled: 1-line block ×3, first 2 shown]
	v_fma_f64 v[151:152], v[27:28], s[46:47], -v[151:152]
	v_add_f64 v[7:8], v[239:240], v[7:8]
	v_add_f64 v[95:96], v[135:136], v[95:96]
	v_add_f64 v[97:98], v[137:138], v[97:98]
	v_fma_f64 v[135:136], v[63:64], s[36:37], v[187:188]
	v_fma_f64 v[137:138], v[61:62], s[60:61], v[189:190]
	v_add_f64 v[99:100], v[129:130], v[99:100]
	v_add_f64 v[101:102], v[191:192], v[101:102]
	v_fma_f64 v[129:130], v[63:64], s[20:21], v[75:76]
	v_fma_f64 v[191:192], v[61:62], s[50:51], v[73:74]
	v_add_f64 v[79:80], v[79:80], v[91:92]
	v_add_f64 v[77:78], v[77:78], v[93:94]
	v_fma_f64 v[75:76], v[63:64], s[20:21], -v[75:76]
	v_fma_f64 v[73:74], v[61:62], s[24:25], v[73:74]
	v_add_f64 v[71:72], v[71:72], v[85:86]
	v_add_f64 v[85:86], v[171:172], v[87:88]
	v_fma_f64 v[63:64], v[63:64], s[36:37], -v[187:188]
	v_fma_f64 v[87:88], v[61:62], s[42:43], v[189:190]
	v_add_f64 v[69:70], v[69:70], v[81:82]
	v_fma_f64 v[61:62], v[61:62], s[54:55], v[161:162]
	v_add_f64 v[81:82], v[141:142], v[89:90]
	v_fma_f64 v[89:90], v[53:54], s[20:21], -v[139:140]
	v_fma_f64 v[139:140], v[55:56], s[52:53], v[65:66]
	v_fma_f64 v[65:66], v[55:56], s[56:57], v[65:66]
	v_add_f64 v[125:126], v[145:146], v[125:126]
	v_fma_f64 v[145:146], v[31:32], s[16:17], v[149:150]
	v_add_f64 v[91:92], v[135:136], v[95:96]
	v_add_f64 v[93:94], v[137:138], v[97:98]
	v_fma_f64 v[95:96], v[53:54], s[26:27], v[153:154]
	v_fma_f64 v[97:98], v[55:56], s[34:35], v[159:160]
	v_mul_f64 v[135:136], v[59:60], s[54:55]
	v_mul_f64 v[137:138], v[57:58], s[12:13]
	v_add_f64 v[99:100], v[129:130], v[99:100]
	v_add_f64 v[101:102], v[191:192], v[101:102]
	v_fma_f64 v[129:130], v[53:54], s[46:47], v[67:68]
	v_mul_f64 v[59:60], v[59:60], s[34:35]
	v_mul_f64 v[57:58], v[57:58], s[26:27]
	v_add_f64 v[75:76], v[75:76], v[79:80]
	v_add_f64 v[73:74], v[73:74], v[77:78]
	v_fma_f64 v[67:68], v[53:54], s[46:47], -v[67:68]
	v_add_f64 v[63:64], v[63:64], v[71:72]
	v_add_f64 v[71:72], v[87:88], v[85:86]
	v_fma_f64 v[53:54], v[53:54], s[26:27], -v[153:154]
	v_fma_f64 v[77:78], v[55:56], s[58:59], v[159:160]
	v_add_f64 v[61:62], v[61:62], v[69:70]
	v_fma_f64 v[55:56], v[55:56], s[24:25], v[155:156]
	v_add_f64 v[69:70], v[89:90], v[81:82]
	v_fma_f64 v[79:80], v[47:48], s[36:37], -v[165:166]
	v_add_f64 v[19:20], v[83:84], v[19:20]
	v_add_f64 v[81:82], v[95:96], v[91:92]
	;; [unrolled: 1-line block ×3, first 2 shown]
	v_fma_f64 v[87:88], v[47:48], s[12:13], v[135:136]
	v_fma_f64 v[89:90], v[45:46], s[30:31], v[137:138]
	v_mul_f64 v[91:92], v[51:52], s[22:23]
	v_mul_f64 v[93:94], v[49:50], s[16:17]
	v_add_f64 v[95:96], v[129:130], v[99:100]
	v_add_f64 v[97:98], v[139:140], v[101:102]
	v_fma_f64 v[99:100], v[47:48], s[26:27], v[59:60]
	v_fma_f64 v[101:102], v[45:46], s[58:59], v[57:58]
	v_mul_f64 v[51:52], v[51:52], s[40:41]
	v_mul_f64 v[49:50], v[49:50], s[18:19]
	v_add_f64 v[67:68], v[67:68], v[75:76]
	v_add_f64 v[65:66], v[65:66], v[73:74]
	v_fma_f64 v[59:60], v[47:48], s[26:27], -v[59:60]
	v_fma_f64 v[57:58], v[45:46], s[34:35], v[57:58]
	v_add_f64 v[53:54], v[53:54], v[63:64]
	v_add_f64 v[63:64], v[77:78], v[71:72]
	v_fma_f64 v[47:48], v[47:48], s[12:13], -v[135:136]
	v_fma_f64 v[71:72], v[45:46], s[54:55], v[137:138]
	v_add_f64 v[55:56], v[55:56], v[61:62]
	v_fma_f64 v[45:46], v[45:46], s[60:61], v[167:168]
	v_add_f64 v[61:62], v[79:80], v[69:70]
	v_fma_f64 v[69:70], v[39:40], s[46:47], -v[133:134]
	v_add_f64 v[73:74], v[87:88], v[81:82]
	v_add_f64 v[75:76], v[89:90], v[85:86]
	v_fma_f64 v[77:78], v[39:40], s[16:17], v[91:92]
	v_fma_f64 v[79:80], v[37:38], s[62:63], v[93:94]
	v_mul_f64 v[81:82], v[43:44], s[56:57]
	v_mul_f64 v[85:86], v[41:42], s[46:47]
	v_add_f64 v[87:88], v[99:100], v[95:96]
	v_add_f64 v[89:90], v[101:102], v[97:98]
	v_fma_f64 v[95:96], v[39:40], s[18:19], v[51:52]
	v_fma_f64 v[97:98], v[37:38], s[48:49], v[49:50]
	v_mul_f64 v[43:44], v[43:44], s[38:39]
	v_mul_f64 v[41:42], v[41:42], s[28:29]
	v_add_f64 v[59:60], v[59:60], v[67:68]
	v_add_f64 v[57:58], v[57:58], v[65:66]
	v_fma_f64 v[51:52], v[39:40], s[18:19], -v[51:52]
	v_fma_f64 v[49:50], v[37:38], s[40:41], v[49:50]
	v_add_f64 v[47:48], v[47:48], v[53:54]
	v_add_f64 v[53:54], v[71:72], v[63:64]
	v_fma_f64 v[39:40], v[39:40], s[16:17], -v[91:92]
	v_fma_f64 v[63:64], v[37:38], s[22:23], v[93:94]
	v_add_f64 v[45:46], v[45:46], v[55:56]
	v_fma_f64 v[37:38], v[37:38], s[52:53], v[175:176]
	v_add_f64 v[55:56], v[69:70], v[61:62]
	v_fma_f64 v[61:62], v[31:32], s[16:17], -v[149:150]
	v_add_f64 v[65:66], v[77:78], v[73:74]
	v_add_f64 v[67:68], v[79:80], v[75:76]
	v_fma_f64 v[69:70], v[31:32], s[46:47], v[81:82]
	v_fma_f64 v[71:72], v[29:30], s[52:53], v[85:86]
	v_mul_f64 v[73:74], v[35:36], s[38:39]
	v_mul_f64 v[75:76], v[33:34], s[28:29]
	v_add_f64 v[77:78], v[95:96], v[87:88]
	v_add_f64 v[79:80], v[97:98], v[89:90]
	v_fma_f64 v[87:88], v[31:32], s[28:29], v[43:44]
	v_fma_f64 v[89:90], v[29:30], s[44:45], v[41:42]
	v_mul_f64 v[35:36], v[35:36], s[60:61]
	v_mul_f64 v[33:34], v[33:34], s[36:37]
	v_add_f64 v[51:52], v[51:52], v[59:60]
	v_add_f64 v[49:50], v[49:50], v[57:58]
	v_fma_f64 v[43:44], v[31:32], s[28:29], -v[43:44]
	v_fma_f64 v[41:42], v[29:30], s[38:39], v[41:42]
	v_add_f64 v[39:40], v[39:40], v[47:48]
	v_add_f64 v[47:48], v[63:64], v[53:54]
	v_fma_f64 v[53:54], v[29:30], s[56:57], v[85:86]
	v_add_f64 v[37:38], v[37:38], v[45:46]
	v_fma_f64 v[29:30], v[29:30], s[22:23], v[177:178]
	v_fma_f64 v[31:32], v[31:32], s[46:47], -v[81:82]
	v_add_f64 v[59:60], v[193:194], v[125:126]
	v_fma_f64 v[45:46], v[27:28], s[18:19], v[195:196]
	v_fma_f64 v[63:64], v[25:26], s[48:49], v[173:174]
	v_add_f64 v[55:56], v[61:62], v[55:56]
	v_fma_f64 v[61:62], v[27:28], s[18:19], -v[195:196]
	v_add_f64 v[65:66], v[69:70], v[65:66]
	v_add_f64 v[67:68], v[71:72], v[67:68]
	v_fma_f64 v[69:70], v[27:28], s[28:29], v[73:74]
	v_fma_f64 v[71:72], v[25:26], s[44:45], v[75:76]
	v_add_f64 v[77:78], v[87:88], v[77:78]
	v_fma_f64 v[81:82], v[27:28], s[36:37], v[35:36]
	v_fma_f64 v[35:36], v[27:28], s[36:37], -v[35:36]
	v_fma_f64 v[87:88], v[25:26], s[60:61], v[33:34]
	v_fma_f64 v[27:28], v[27:28], s[28:29], -v[73:74]
	v_add_f64 v[43:44], v[43:44], v[51:52]
	v_add_f64 v[51:52], v[41:42], v[49:50]
	v_fma_f64 v[73:74], v[25:26], s[38:39], v[75:76]
	v_fma_f64 v[93:94], v[25:26], s[40:41], v[173:174]
	;; [unrolled: 1-line block ×3, first 2 shown]
	v_add_f64 v[57:58], v[145:146], v[127:128]
	v_add_f64 v[75:76], v[29:30], v[37:38]
	v_fma_f64 v[97:98], v[25:26], s[56:57], v[163:164]
	v_add_f64 v[79:80], v[89:90], v[79:80]
	v_add_f64 v[89:90], v[31:32], v[39:40]
	v_fma_f64 v[85:86], v[25:26], s[42:43], v[33:34]
	v_add_f64 v[91:92], v[53:54], v[47:48]
	v_add_f64 v[29:30], v[183:184], v[119:120]
	;; [unrolled: 1-line block ×6, first 2 shown]
	v_mul_u32_u24_e32 v69, 0x770, v109
	v_add_f64 v[37:38], v[157:158], v[115:116]
	v_add_f64 v[39:40], v[169:170], v[117:118]
	;; [unrolled: 1-line block ×16, first 2 shown]
	v_add3_u32 v69, 0, v69, v110
	v_add_f64 v[67:68], v[73:74], v[91:92]
	ds_write_b128 v69, v[9:12]
	ds_write_b128 v69, v[5:8] offset:112
	ds_write_b128 v69, v[13:16] offset:224
	;; [unrolled: 1-line block ×3, first 2 shown]
	v_add_nc_u32_e32 v5, s64, v107
	ds_write_b128 v69, v[29:32] offset:448
	ds_write_b128 v69, v[37:40] offset:560
	;; [unrolled: 1-line block ×7, first 2 shown]
	v_cmp_gt_u32_e32 vcc_lo, s10, v5
	ds_write_b128 v69, v[49:52] offset:1232
	ds_write_b128 v69, v[41:44] offset:1344
	ds_write_b128 v69, v[33:36] offset:1456
	ds_write_b128 v69, v[25:28] offset:1568
	ds_write_b128 v69, v[17:20] offset:1680
	ds_write_b128 v69, v[1:4] offset:1792
	s_waitcnt lgkmcnt(0)
	s_barrier
	s_or_b32 s3, s3, vcc_lo
	buffer_gl0_inv
	s_and_saveexec_b32 s10, s3
	s_cbranch_execz .LBB0_12
; %bb.11:
	v_mul_hi_u32 v1, 0xf0f0f10, v109
	s_clause 0x1
	s_load_dwordx2 s[10:11], s[4:5], 0x0
	s_load_dwordx2 s[4:5], s[4:5], 0x60
	v_mul_hi_u32 v0, 0x226b903, v0
	s_mul_i32 s3, s1, s64
	s_mul_i32 s6, s6, s14
	;; [unrolled: 1-line block ×3, first 2 shown]
	s_mul_hi_u32 s14, s8, s33
	v_mul_u32_u24_e32 v1, 17, v1
	s_add_i32 s9, s14, s9
	s_mul_i32 s8, s8, s33
	v_sub_nc_u32_e32 v255, v109, v1
	v_lshlrev_b32_e32 v1, 8, v255
	v_mad_u32_u24 v0, 0x121, v0, v255
	s_waitcnt lgkmcnt(0)
	s_clause 0xf
	global_load_dwordx4 v[5:8], v1, s[10:11]
	global_load_dwordx4 v[9:12], v1, s[10:11] offset:240
	global_load_dwordx4 v[19:22], v1, s[10:11] offset:16
	;; [unrolled: 1-line block ×15, first 2 shown]
	ds_read_b128 v[13:16], v108 offset:1904
	ds_read_b128 v[77:80], v108 offset:30464
	;; [unrolled: 1-line block ×10, first 2 shown]
	ds_read_b128 v[1:4], v108
	ds_read_b128 v[117:120], v108 offset:15232
	ds_read_b128 v[121:124], v108 offset:17136
	;; [unrolled: 1-line block ×6, first 2 shown]
	s_mul_hi_u32 s10, s0, s64
	s_add_i32 s11, s10, s3
	s_mul_i32 s10, s0, s64
	s_waitcnt vmcnt(15) lgkmcnt(16)
	v_mul_f64 v[17:18], v[15:16], v[7:8]
	s_waitcnt vmcnt(14) lgkmcnt(15)
	v_mul_f64 v[67:68], v[79:80], v[11:12]
	v_mul_f64 v[7:8], v[13:14], v[7:8]
	v_mul_f64 v[11:12], v[77:78], v[11:12]
	s_waitcnt vmcnt(13) lgkmcnt(14)
	v_mul_f64 v[141:142], v[83:84], v[21:22]
	s_waitcnt vmcnt(12) lgkmcnt(13)
	v_mul_f64 v[143:144], v[87:88], v[25:26]
	v_mul_f64 v[21:22], v[81:82], v[21:22]
	v_mul_f64 v[25:26], v[85:86], v[25:26]
	;; [unrolled: 6-line block ×3, first 2 shown]
	v_mul_f64 v[147:148], v[95:96], v[33:34]
	v_mul_f64 v[29:30], v[89:90], v[29:30]
	s_waitcnt vmcnt(1) lgkmcnt(5)
	v_mul_f64 v[169:170], v[119:120], v[71:72]
	v_mul_f64 v[71:72], v[117:118], v[71:72]
	;; [unrolled: 1-line block ×7, first 2 shown]
	s_waitcnt lgkmcnt(3)
	v_mul_f64 v[157:158], v[127:128], v[53:54]
	v_fma_f64 v[173:174], v[13:14], v[5:6], v[17:18]
	s_waitcnt lgkmcnt(1)
	v_mul_f64 v[159:160], v[135:136], v[57:58]
	v_fma_f64 v[5:6], v[15:16], v[5:6], -v[7:8]
	v_fma_f64 v[15:16], v[79:80], v[9:10], -v[11:12]
	v_mul_f64 v[161:162], v[125:126], v[53:54]
	v_mul_f64 v[57:58], v[133:134], v[57:58]
	;; [unrolled: 1-line block ×3, first 2 shown]
	s_waitcnt lgkmcnt(0)
	v_mul_f64 v[165:166], v[139:140], v[65:66]
	v_mul_f64 v[61:62], v[129:130], v[61:62]
	;; [unrolled: 1-line block ×3, first 2 shown]
	s_waitcnt vmcnt(0)
	v_mul_f64 v[171:172], v[123:124], v[75:76]
	v_fma_f64 v[13:14], v[77:78], v[9:10], v[67:68]
	v_fma_f64 v[7:8], v[81:82], v[19:20], v[141:142]
	;; [unrolled: 1-line block ×3, first 2 shown]
	v_fma_f64 v[9:10], v[83:84], v[19:20], -v[21:22]
	v_fma_f64 v[19:20], v[87:88], v[23:24], -v[25:26]
	v_fma_f64 v[143:144], v[97:98], v[35:36], v[149:150]
	v_fma_f64 v[25:26], v[109:110], v[39:40], v[151:152]
	v_fma_f64 v[108:109], v[99:100], v[35:36], -v[37:38]
	v_fma_f64 v[97:98], v[117:118], v[69:70], v[169:170]
	v_fma_f64 v[99:100], v[119:120], v[69:70], -v[71:72]
	v_mul_f64 v[45:46], v[101:102], v[45:46]
	v_mul_f64 v[75:76], v[121:122], v[75:76]
	v_fma_f64 v[11:12], v[89:90], v[27:28], v[145:146]
	v_fma_f64 v[141:142], v[91:92], v[27:28], -v[29:30]
	v_add_f64 v[118:119], v[5:6], -v[15:16]
	v_fma_f64 v[23:24], v[95:96], v[31:32], -v[33:34]
	v_fma_f64 v[27:28], v[111:112], v[39:40], -v[41:42]
	v_fma_f64 v[110:111], v[101:102], v[43:44], v[153:154]
	v_fma_f64 v[33:34], v[113:114], v[47:48], v[155:156]
	v_fma_f64 v[39:40], v[115:116], v[47:48], -v[49:50]
	v_fma_f64 v[114:115], v[125:126], v[51:52], v[157:158]
	v_fma_f64 v[53:54], v[133:134], v[55:56], v[159:160]
	v_fma_f64 v[125:126], v[127:128], v[51:52], -v[161:162]
	v_fma_f64 v[55:56], v[135:136], v[55:56], -v[57:58]
	v_fma_f64 v[127:128], v[129:130], v[59:60], v[163:164]
	v_fma_f64 v[65:66], v[137:138], v[63:64], v[165:166]
	v_fma_f64 v[129:130], v[131:132], v[59:60], -v[61:62]
	v_fma_f64 v[67:68], v[139:140], v[63:64], -v[167:168]
	v_fma_f64 v[85:86], v[121:122], v[73:74], v[171:172]
	v_add_f64 v[116:117], v[173:174], -v[13:14]
	v_add_f64 v[136:137], v[5:6], v[15:16]
	v_add_f64 v[101:102], v[9:10], -v[19:20]
	v_add_f64 v[138:139], v[173:174], v[13:14]
	v_add_f64 v[5:6], v[3:4], v[5:6]
	;; [unrolled: 1-line block ×3, first 2 shown]
	v_fma_f64 v[112:113], v[103:104], v[43:44], -v[45:46]
	v_mul_f64 v[131:132], v[118:119], s[22:23]
	v_fma_f64 v[89:90], v[123:124], v[73:74], -v[75:76]
	v_add_f64 v[103:104], v[7:8], -v[17:18]
	v_add_f64 v[95:96], v[7:8], v[17:18]
	v_mul_f64 v[169:170], v[118:119], s[24:25]
	v_fma_f64 v[21:22], v[93:94], v[31:32], v[147:148]
	v_add_f64 v[93:94], v[9:10], v[19:20]
	v_mul_f64 v[179:180], v[118:119], s[34:35]
	v_add_f64 v[87:88], v[141:142], -v[23:24]
	v_add_f64 v[83:84], v[143:144], -v[25:26]
	v_add_f64 v[79:80], v[141:142], v[23:24]
	v_add_f64 v[81:82], v[108:109], -v[27:28]
	v_add_f64 v[69:70], v[108:109], v[27:28]
	v_add_f64 v[71:72], v[143:144], v[25:26]
	v_mul_f64 v[241:242], v[118:119], s[48:49]
	v_mul_f64 v[122:123], v[116:117], s[22:23]
	;; [unrolled: 1-line block ×5, first 2 shown]
	v_add_f64 v[5:6], v[5:6], v[9:10]
	v_add_f64 v[7:8], v[120:121], v[7:8]
	v_mul_f64 v[181:182], v[101:102], s[40:41]
	v_fma_f64 v[225:226], v[138:139], s[16:17], -v[131:132]
	v_mul_f64 v[219:220], v[116:117], s[38:39]
	v_mul_f64 v[133:134], v[103:104], s[30:31]
	;; [unrolled: 1-line block ×3, first 2 shown]
	v_fma_f64 v[131:132], v[138:139], s[16:17], v[131:132]
	v_fma_f64 v[245:246], v[138:139], s[20:21], -v[169:170]
	v_fma_f64 v[169:170], v[138:139], s[20:21], v[169:170]
	v_add_f64 v[91:92], v[11:12], -v[21:22]
	v_add_f64 v[77:78], v[11:12], v[21:22]
	v_mul_f64 v[177:178], v[103:104], s[40:41]
	v_mul_f64 v[185:186], v[101:102], s[44:45]
	;; [unrolled: 1-line block ×4, first 2 shown]
	v_fma_f64 v[253:254], v[138:139], s[26:27], -v[179:180]
	v_fma_f64 v[179:180], v[138:139], s[26:27], v[179:180]
	v_fma_f64 v[217:218], v[136:137], s[16:17], v[122:123]
	;; [unrolled: 1-line block ×3, first 2 shown]
	v_fma_f64 v[247:248], v[95:96], s[12:13], -v[145:146]
	v_fma_f64 v[239:240], v[136:137], s[20:21], v[167:168]
	v_add_f64 v[5:6], v[5:6], v[141:142]
	v_add_f64 v[7:8], v[7:8], v[11:12]
	v_fma_f64 v[167:168], v[136:137], s[20:21], -v[167:168]
	v_add_f64 v[225:226], v[1:2], v[225:226]
	v_fma_f64 v[145:146], v[95:96], s[12:13], v[145:146]
	v_fma_f64 v[11:12], v[93:94], s[12:13], v[133:134]
	v_mul_f64 v[229:230], v[116:117], s[42:43]
	v_add_f64 v[131:132], v[1:2], v[131:132]
	v_fma_f64 v[122:123], v[136:137], s[16:17], -v[122:123]
	v_add_f64 v[169:170], v[1:2], v[169:170]
	v_mul_f64 v[233:234], v[118:119], s[42:43]
	v_mul_f64 v[140:141], v[103:104], s[34:35]
	;; [unrolled: 1-line block ×3, first 2 shown]
	v_fma_f64 v[251:252], v[93:94], s[18:19], v[177:178]
	v_fma_f64 v[175:176], v[136:137], s[26:27], -v[175:176]
	v_fma_f64 v[177:178], v[93:94], s[18:19], -v[177:178]
	v_add_f64 v[245:246], v[1:2], v[245:246]
	v_add_f64 v[179:180], v[1:2], v[179:180]
	;; [unrolled: 1-line block ×4, first 2 shown]
	v_mul_f64 v[187:188], v[91:92], s[42:43]
	v_mul_f64 v[189:190], v[87:88], s[42:43]
	v_add_f64 v[5:6], v[5:6], v[108:109]
	v_fma_f64 v[108:109], v[95:96], s[18:19], -v[181:182]
	v_fma_f64 v[181:182], v[95:96], s[18:19], v[181:182]
	v_add_f64 v[7:8], v[7:8], v[143:144]
	v_fma_f64 v[142:143], v[93:94], s[28:29], v[183:184]
	v_add_f64 v[225:226], v[247:248], v[225:226]
	;; [unrolled: 2-line block ×3, first 2 shown]
	v_add_f64 v[131:132], v[145:146], v[131:132]
	v_fma_f64 v[144:145], v[93:94], s[20:21], v[223:224]
	v_mul_f64 v[191:192], v[91:92], s[54:55]
	v_mul_f64 v[221:222], v[118:119], s[38:39]
	;; [unrolled: 1-line block ×4, first 2 shown]
	v_fma_f64 v[133:134], v[93:94], s[12:13], -v[133:134]
	v_add_f64 v[122:123], v[3:4], v[122:123]
	v_fma_f64 v[183:184], v[93:94], s[28:29], -v[183:184]
	v_add_f64 v[253:254], v[1:2], v[253:254]
	v_add_f64 v[11:12], v[11:12], v[217:218]
	v_fma_f64 v[217:218], v[95:96], s[28:29], -v[185:186]
	v_fma_f64 v[185:186], v[95:96], s[28:29], v[185:186]
	v_add_f64 v[175:176], v[3:4], v[175:176]
	v_add_f64 v[75:76], v[110:111], -v[33:34]
	v_add_f64 v[108:109], v[108:109], v[245:246]
	v_add_f64 v[169:170], v[181:182], v[169:170]
	v_fma_f64 v[181:182], v[136:137], s[18:19], v[237:238]
	v_add_f64 v[142:143], v[142:143], v[249:250]
	v_fma_f64 v[249:250], v[138:139], s[18:19], -v[241:242]
	v_add_f64 v[247:248], v[3:4], v[247:248]
	v_fma_f64 v[237:238], v[136:137], s[18:19], -v[237:238]
	v_fma_f64 v[241:242], v[138:139], s[18:19], v[241:242]
	v_fma_f64 v[245:246], v[136:137], s[36:37], v[229:230]
	v_add_f64 v[167:168], v[177:178], v[167:168]
	v_fma_f64 v[177:178], v[138:139], s[36:37], -v[233:234]
	v_fma_f64 v[229:230], v[136:137], s[36:37], -v[229:230]
	v_fma_f64 v[233:234], v[138:139], s[36:37], v[233:234]
	v_add_f64 v[73:74], v[112:113], -v[39:40]
	v_add_f64 v[57:58], v[112:113], v[39:40]
	v_add_f64 v[59:60], v[110:111], v[33:34]
	v_mul_f64 v[147:148], v[91:92], s[24:25]
	v_mul_f64 v[149:150], v[87:88], s[24:25]
	;; [unrolled: 1-line block ×3, first 2 shown]
	v_add_f64 v[179:180], v[185:186], v[179:180]
	v_fma_f64 v[185:186], v[93:94], s[26:27], v[140:141]
	v_fma_f64 v[140:141], v[93:94], s[26:27], -v[140:141]
	v_add_f64 v[239:240], v[3:4], v[239:240]
	v_add_f64 v[122:123], v[133:134], v[122:123]
	;; [unrolled: 1-line block ×3, first 2 shown]
	v_fma_f64 v[133:134], v[138:139], s[28:29], -v[221:222]
	v_add_f64 v[249:250], v[1:2], v[249:250]
	v_add_f64 v[144:145], v[144:145], v[247:248]
	v_fma_f64 v[247:248], v[95:96], s[26:27], -v[243:244]
	v_fma_f64 v[243:244], v[95:96], s[26:27], v[243:244]
	v_add_f64 v[237:238], v[3:4], v[237:238]
	v_add_f64 v[241:242], v[1:2], v[241:242]
	v_add_f64 v[217:218], v[217:218], v[253:254]
	v_fma_f64 v[253:254], v[93:94], s[16:17], v[231:232]
	v_add_f64 v[175:176], v[183:184], v[175:176]
	v_fma_f64 v[183:184], v[95:96], s[16:17], -v[235:236]
	v_add_f64 v[245:246], v[3:4], v[245:246]
	v_fma_f64 v[231:232], v[93:94], s[16:17], -v[231:232]
	v_add_f64 v[177:178], v[1:2], v[177:178]
	v_fma_f64 v[235:236], v[95:96], s[16:17], v[235:236]
	v_add_f64 v[229:230], v[3:4], v[229:230]
	v_add_f64 v[233:234], v[1:2], v[233:234]
	;; [unrolled: 1-line block ×3, first 2 shown]
	v_fma_f64 v[112:113], v[79:80], s[12:13], v[191:192]
	v_add_f64 v[7:8], v[7:8], v[110:111]
	v_mul_f64 v[110:111], v[91:92], s[62:63]
	v_add_f64 v[181:182], v[185:186], v[181:182]
	v_fma_f64 v[185:186], v[79:80], s[36:37], v[187:188]
	v_fma_f64 v[187:188], v[79:80], s[36:37], -v[187:188]
	v_fma_f64 v[191:192], v[79:80], s[12:13], -v[191:192]
	v_add_f64 v[247:248], v[247:248], v[249:250]
	v_fma_f64 v[249:250], v[77:78], s[36:37], -v[189:190]
	v_add_f64 v[140:141], v[140:141], v[237:238]
	v_mul_f64 v[237:238], v[91:92], s[44:45]
	v_add_f64 v[241:242], v[243:244], v[241:242]
	v_mul_f64 v[243:244], v[87:88], s[44:45]
	v_fma_f64 v[189:190], v[77:78], s[36:37], v[189:190]
	v_mul_f64 v[151:152], v[83:84], s[56:57]
	v_mul_f64 v[153:154], v[81:82], s[56:57]
	;; [unrolled: 1-line block ×5, first 2 shown]
	v_fma_f64 v[219:220], v[136:137], s[28:29], -v[219:220]
	v_fma_f64 v[221:222], v[138:139], s[28:29], v[221:222]
	v_add_f64 v[239:240], v[251:252], v[239:240]
	v_fma_f64 v[251:252], v[95:96], s[20:21], -v[227:228]
	v_add_f64 v[133:134], v[1:2], v[133:134]
	v_add_f64 v[245:246], v[253:254], v[245:246]
	v_fma_f64 v[253:254], v[79:80], s[20:21], v[147:148]
	v_add_f64 v[177:178], v[183:184], v[177:178]
	v_fma_f64 v[183:184], v[77:78], s[20:21], -v[149:150]
	v_add_f64 v[229:230], v[231:232], v[229:230]
	v_mul_f64 v[231:232], v[91:92], s[56:57]
	v_add_f64 v[233:234], v[235:236], v[233:234]
	v_mul_f64 v[235:236], v[87:88], s[56:57]
	v_fma_f64 v[146:147], v[79:80], s[20:21], -v[147:148]
	v_add_f64 v[167:168], v[187:188], v[167:168]
	v_fma_f64 v[187:188], v[79:80], s[28:29], v[237:238]
	v_add_f64 v[169:170], v[189:190], v[169:170]
	v_fma_f64 v[189:190], v[77:78], s[28:29], -v[243:244]
	v_add_f64 v[175:176], v[191:192], v[175:176]
	v_fma_f64 v[191:192], v[79:80], s[16:17], v[110:111]
	v_fma_f64 v[110:111], v[79:80], s[16:17], -v[110:111]
	v_add_f64 v[63:64], v[114:115], -v[53:54]
	v_add_f64 v[61:62], v[125:126], -v[55:56]
	v_add_f64 v[45:46], v[125:126], v[55:56]
	v_add_f64 v[47:48], v[114:115], v[53:54]
	v_mul_f64 v[201:202], v[81:82], s[24:25]
	v_fma_f64 v[223:224], v[93:94], s[20:21], -v[223:224]
	v_fma_f64 v[227:228], v[95:96], s[20:21], v[227:228]
	v_add_f64 v[219:220], v[3:4], v[219:220]
	v_add_f64 v[221:222], v[1:2], v[221:222]
	;; [unrolled: 1-line block ×4, first 2 shown]
	v_fma_f64 v[253:254], v[77:78], s[12:13], -v[193:194]
	v_add_f64 v[183:184], v[183:184], v[225:226]
	v_mul_f64 v[225:226], v[87:88], s[62:63]
	v_fma_f64 v[193:194], v[77:78], s[12:13], v[193:194]
	v_add_f64 v[122:123], v[146:147], v[122:123]
	v_fma_f64 v[146:147], v[79:80], s[46:47], v[231:232]
	v_add_f64 v[185:186], v[185:186], v[239:240]
	v_fma_f64 v[239:240], v[77:78], s[46:47], -v[235:236]
	v_fma_f64 v[237:238], v[79:80], s[28:29], -v[237:238]
	v_add_f64 v[187:188], v[187:188], v[245:246]
	v_fma_f64 v[245:246], v[69:70], s[46:47], v[151:152]
	v_add_f64 v[177:178], v[189:190], v[177:178]
	v_fma_f64 v[189:190], v[71:72], s[46:47], -v[153:154]
	v_add_f64 v[181:182], v[191:192], v[181:182]
	v_fma_f64 v[191:192], v[69:70], s[26:27], v[195:196]
	v_add_f64 v[110:111], v[110:111], v[140:141]
	v_mul_f64 v[140:141], v[83:84], s[30:31]
	v_fma_f64 v[195:196], v[69:70], s[26:27], -v[195:196]
	v_add_f64 v[5:6], v[5:6], v[125:126]
	v_fma_f64 v[124:125], v[69:70], s[20:21], v[199:200]
	v_add_f64 v[7:8], v[7:8], v[114:115]
	v_mul_f64 v[114:115], v[83:84], s[44:45]
	v_fma_f64 v[199:200], v[69:70], s[20:21], -v[199:200]
	v_fma_f64 v[148:149], v[77:78], s[20:21], v[149:150]
	v_mul_f64 v[157:158], v[73:74], s[34:35]
	v_mul_f64 v[197:198], v[81:82], s[58:59]
	;; [unrolled: 1-line block ×3, first 2 shown]
	v_add_f64 v[219:220], v[223:224], v[219:220]
	v_add_f64 v[221:222], v[227:228], v[221:222]
	v_fma_f64 v[231:232], v[79:80], s[46:47], -v[231:232]
	v_fma_f64 v[235:236], v[77:78], s[46:47], v[235:236]
	v_add_f64 v[179:180], v[193:194], v[179:180]
	v_fma_f64 v[193:194], v[77:78], s[16:17], -v[225:226]
	v_add_f64 v[144:145], v[146:147], v[144:145]
	v_mul_f64 v[146:147], v[83:84], s[48:49]
	v_fma_f64 v[225:226], v[77:78], s[16:17], v[225:226]
	v_add_f64 v[133:134], v[239:240], v[133:134]
	v_mul_f64 v[239:240], v[81:82], s[48:49]
	v_add_f64 v[229:230], v[237:238], v[229:230]
	v_fma_f64 v[150:151], v[69:70], s[46:47], -v[151:152]
	v_add_f64 v[11:12], v[245:246], v[11:12]
	v_fma_f64 v[245:246], v[71:72], s[20:21], -v[201:202]
	v_add_f64 v[183:184], v[189:190], v[183:184]
	v_mul_f64 v[189:190], v[81:82], s[44:45]
	v_fma_f64 v[201:202], v[71:72], s[20:21], v[201:202]
	v_add_f64 v[167:168], v[195:196], v[167:168]
	v_fma_f64 v[195:196], v[69:70], s[12:13], v[140:141]
	v_fma_f64 v[140:141], v[69:70], s[12:13], -v[140:141]
	v_add_f64 v[175:176], v[199:200], v[175:176]
	v_fma_f64 v[199:200], v[69:70], s[28:29], v[114:115]
	v_mul_f64 v[155:156], v[75:76], s[34:35]
	v_add_f64 v[131:132], v[148:149], v[131:132]
	v_fma_f64 v[152:153], v[71:72], s[46:47], v[153:154]
	v_mul_f64 v[205:206], v[73:74], s[54:55]
	v_mul_f64 v[9:10], v[75:76], s[60:61]
	;; [unrolled: 1-line block ×3, first 2 shown]
	v_add_f64 v[112:113], v[112:113], v[142:143]
	v_add_f64 v[217:218], v[253:254], v[217:218]
	v_add_f64 v[219:220], v[231:232], v[219:220]
	v_mul_f64 v[231:232], v[75:76], s[22:23]
	v_add_f64 v[221:222], v[235:236], v[221:222]
	v_mul_f64 v[235:236], v[73:74], s[22:23]
	v_add_f64 v[193:194], v[193:194], v[247:248]
	v_fma_f64 v[247:248], v[71:72], s[26:27], -v[197:198]
	v_add_f64 v[225:226], v[225:226], v[241:242]
	v_fma_f64 v[197:198], v[71:72], s[26:27], v[197:198]
	v_add_f64 v[122:123], v[150:151], v[122:123]
	v_fma_f64 v[150:151], v[69:70], s[18:19], v[146:147]
	v_add_f64 v[185:186], v[191:192], v[185:186]
	v_fma_f64 v[191:192], v[71:72], s[18:19], -v[239:240]
	v_fma_f64 v[146:147], v[69:70], s[18:19], -v[146:147]
	v_add_f64 v[179:180], v[201:202], v[179:180]
	v_fma_f64 v[201:202], v[71:72], s[28:29], -v[189:190]
	v_fma_f64 v[114:115], v[69:70], s[28:29], -v[114:115]
	v_fma_f64 v[189:190], v[71:72], s[28:29], v[189:190]
	v_add_f64 v[140:141], v[140:141], v[229:230]
	v_fma_f64 v[229:230], v[59:60], s[26:27], -v[157:158]
	v_add_f64 v[181:182], v[199:200], v[181:182]
	v_fma_f64 v[199:200], v[57:58], s[12:13], v[203:204]
	v_fma_f64 v[243:244], v[77:78], s[28:29], v[243:244]
	v_mul_f64 v[241:242], v[81:82], s[30:31]
	v_add_f64 v[131:132], v[152:153], v[131:132]
	v_fma_f64 v[239:240], v[71:72], s[18:19], v[239:240]
	v_add_f64 v[187:188], v[195:196], v[187:188]
	v_fma_f64 v[195:196], v[57:58], s[26:27], v[155:156]
	v_fma_f64 v[154:155], v[57:58], s[26:27], -v[155:156]
	v_fma_f64 v[156:157], v[59:60], s[26:27], v[157:158]
	v_add_f64 v[51:52], v[127:128], -v[65:66]
	v_add_f64 v[49:50], v[129:130], -v[67:68]
	v_add_f64 v[37:38], v[129:130], v[67:68]
	v_add_f64 v[35:36], v[127:128], v[65:66]
	v_mul_f64 v[159:160], v[63:64], s[40:41]
	v_mul_f64 v[209:210], v[63:64], s[22:23]
	v_add_f64 v[108:109], v[249:250], v[108:109]
	v_add_f64 v[169:170], v[197:198], v[169:170]
	;; [unrolled: 1-line block ×5, first 2 shown]
	v_mul_f64 v[150:151], v[75:76], s[48:49]
	v_add_f64 v[133:134], v[191:192], v[133:134]
	v_mul_f64 v[191:192], v[73:74], s[48:49]
	v_add_f64 v[146:147], v[146:147], v[219:220]
	v_add_f64 v[193:194], v[201:202], v[193:194]
	v_fma_f64 v[201:202], v[59:60], s[12:13], -v[205:206]
	v_add_f64 v[110:111], v[114:115], v[110:111]
	v_fma_f64 v[114:115], v[57:58], s[12:13], -v[203:204]
	v_add_f64 v[189:190], v[189:190], v[225:226]
	v_fma_f64 v[205:206], v[59:60], s[12:13], v[205:206]
	v_add_f64 v[225:226], v[5:6], v[129:130]
	v_fma_f64 v[5:6], v[57:58], s[36:37], v[9:10]
	v_add_f64 v[7:8], v[7:8], v[127:128]
	v_fma_f64 v[126:127], v[59:60], s[36:37], -v[207:208]
	v_mul_f64 v[128:129], v[75:76], s[56:57]
	v_fma_f64 v[9:10], v[57:58], s[36:37], -v[9:10]
	v_add_f64 v[183:184], v[229:230], v[183:184]
	v_add_f64 v[185:186], v[199:200], v[185:186]
	v_fma_f64 v[199:200], v[59:60], s[16:17], -v[235:236]
	v_fma_f64 v[229:230], v[57:58], s[16:17], -v[231:232]
	v_mul_f64 v[161:162], v[61:62], s[40:41]
	v_add_f64 v[233:234], v[243:244], v[233:234]
	v_fma_f64 v[197:198], v[71:72], s[12:13], -v[241:242]
	v_fma_f64 v[241:242], v[71:72], s[12:13], v[241:242]
	v_add_f64 v[221:222], v[239:240], v[221:222]
	v_fma_f64 v[207:208], v[59:60], s[36:37], v[207:208]
	v_add_f64 v[130:131], v[156:157], v[131:132]
	v_fma_f64 v[156:157], v[57:58], s[16:17], v[231:232]
	v_fma_f64 v[231:232], v[59:60], s[16:17], v[235:236]
	v_mul_f64 v[163:164], v[51:52], s[38:39]
	v_mul_f64 v[211:212], v[61:62], s[22:23]
	;; [unrolled: 1-line block ×6, first 2 shown]
	v_add_f64 v[108:109], v[247:248], v[108:109]
	v_add_f64 v[122:123], v[154:155], v[122:123]
	;; [unrolled: 1-line block ×4, first 2 shown]
	v_mul_f64 v[205:206], v[116:117], s[52:53]
	v_add_f64 v[5:6], v[5:6], v[112:113]
	v_fma_f64 v[112:113], v[57:58], s[18:19], v[150:151]
	v_add_f64 v[126:127], v[126:127], v[217:218]
	v_fma_f64 v[217:218], v[59:60], s[18:19], -v[191:192]
	v_add_f64 v[9:10], v[9:10], v[175:176]
	v_mul_f64 v[175:176], v[118:119], s[52:53]
	v_mul_f64 v[235:236], v[116:117], s[54:55]
	v_fma_f64 v[116:117], v[57:58], s[18:19], -v[150:151]
	v_mul_f64 v[150:151], v[118:119], s[54:55]
	v_fma_f64 v[118:119], v[59:60], s[18:19], v[191:192]
	v_fma_f64 v[191:192], v[57:58], s[46:47], v[128:129]
	v_add_f64 v[132:133], v[199:200], v[133:134]
	v_add_f64 v[134:135], v[229:230], v[146:147]
	v_fma_f64 v[146:147], v[45:46], s[18:19], v[159:160]
	v_fma_f64 v[128:129], v[57:58], s[46:47], -v[128:129]
	v_fma_f64 v[158:159], v[45:46], s[18:19], -v[159:160]
	v_fma_f64 v[229:230], v[45:46], s[16:17], v[209:210]
	v_fma_f64 v[209:210], v[45:46], s[16:17], -v[209:210]
	v_add_f64 v[233:234], v[241:242], v[233:234]
	v_add_f64 v[11:12], v[195:196], v[11:12]
	;; [unrolled: 1-line block ×4, first 2 shown]
	v_fma_f64 v[221:222], v[47:48], s[18:19], -v[161:162]
	v_add_f64 v[41:42], v[97:98], -v[85:86]
	v_add_f64 v[43:44], v[99:100], -v[89:90]
	v_mul_f64 v[165:166], v[49:50], s[38:39]
	v_mul_f64 v[215:216], v[51:52], s[56:57]
	v_mul_f64 v[120:121], v[49:50], s[56:57]
	v_mul_f64 v[148:149], v[51:52], s[22:23]
	v_mul_f64 v[249:250], v[49:50], s[22:23]
	v_mul_f64 v[152:153], v[51:52], s[54:55]
	v_mul_f64 v[219:220], v[63:64], s[24:25]
	v_mul_f64 v[239:240], v[61:62], s[24:25]
	v_add_f64 v[177:178], v[197:198], v[177:178]
	v_mul_f64 v[195:196], v[73:74], s[56:57]
	v_mul_f64 v[154:155], v[63:64], s[54:55]
	v_add_f64 v[108:109], v[201:202], v[108:109]
	v_add_f64 v[144:145], v[156:157], v[144:145]
	v_fma_f64 v[160:161], v[47:48], s[18:19], v[161:162]
	v_add_f64 v[112:113], v[112:113], v[187:188]
	v_fma_f64 v[187:188], v[37:38], s[28:29], v[163:164]
	v_fma_f64 v[162:163], v[37:38], s[28:29], -v[163:164]
	v_add_f64 v[181:182], v[191:192], v[181:182]
	v_fma_f64 v[191:192], v[47:48], s[16:17], -v[211:212]
	v_fma_f64 v[211:212], v[47:48], s[16:17], v[211:212]
	v_add_f64 v[231:232], v[128:129], v[110:111]
	v_fma_f64 v[110:111], v[45:46], s[46:47], v[213:214]
	v_fma_f64 v[128:129], v[47:48], s[46:47], -v[251:252]
	v_add_f64 v[122:123], v[158:159], v[122:123]
	v_fma_f64 v[213:214], v[45:46], s[46:47], -v[213:214]
	v_add_f64 v[185:186], v[229:230], v[185:186]
	v_fma_f64 v[229:230], v[45:46], s[36:37], v[237:238]
	v_add_f64 v[114:115], v[209:210], v[114:115]
	v_fma_f64 v[209:210], v[47:48], s[36:37], -v[243:244]
	v_mul_f64 v[247:248], v[49:50], s[54:55]
	v_add_f64 v[118:119], v[118:119], v[233:234]
	v_add_f64 v[11:12], v[146:147], v[11:12]
	;; [unrolled: 1-line block ×3, first 2 shown]
	v_fma_f64 v[221:222], v[47:48], s[46:47], v[251:252]
	v_fma_f64 v[233:234], v[45:46], s[36:37], -v[237:238]
	v_fma_f64 v[237:238], v[47:48], s[36:37], v[243:244]
	v_add_f64 v[31:32], v[99:100], v[89:90]
	v_add_f64 v[29:30], v[97:98], v[85:86]
	v_mul_f64 v[171:172], v[41:42], s[60:61]
	v_mul_f64 v[173:174], v[43:44], s[60:61]
	;; [unrolled: 1-line block ×11, first 2 shown]
	v_fma_f64 v[156:157], v[59:60], s[46:47], -v[195:196]
	v_add_f64 v[177:178], v[217:218], v[177:178]
	v_fma_f64 v[217:218], v[35:36], s[28:29], -v[165:166]
	v_fma_f64 v[164:165], v[35:36], s[28:29], v[165:166]
	v_add_f64 v[116:117], v[116:117], v[140:141]
	v_fma_f64 v[183:184], v[37:38], s[46:47], v[215:216]
	v_fma_f64 v[158:159], v[35:36], s[46:47], -v[120:121]
	v_fma_f64 v[120:121], v[35:36], s[46:47], v[120:121]
	v_add_f64 v[130:131], v[160:161], v[130:131]
	v_add_f64 v[108:109], v[191:192], v[108:109]
	;; [unrolled: 1-line block ×3, first 2 shown]
	v_fma_f64 v[211:212], v[37:38], s[16:17], v[148:149]
	v_add_f64 v[5:6], v[110:111], v[5:6]
	v_fma_f64 v[110:111], v[35:36], s[16:17], -v[249:250]
	v_add_f64 v[126:127], v[128:129], v[126:127]
	v_fma_f64 v[128:129], v[45:46], s[20:21], v[219:220]
	v_fma_f64 v[148:149], v[37:38], s[16:17], -v[148:149]
	v_add_f64 v[9:10], v[213:214], v[9:10]
	v_fma_f64 v[213:214], v[47:48], s[20:21], -v[239:240]
	v_fma_f64 v[219:220], v[45:46], s[20:21], -v[219:220]
	v_add_f64 v[144:145], v[229:230], v[144:145]
	v_add_f64 v[132:133], v[209:210], v[132:133]
	v_fma_f64 v[209:210], v[37:38], s[12:13], v[152:153]
	v_add_f64 v[122:123], v[162:163], v[122:123]
	v_fma_f64 v[162:163], v[45:46], s[12:13], v[154:155]
	v_mul_f64 v[245:246], v[43:44], s[34:35]
	v_fma_f64 v[243:244], v[35:36], s[16:17], v[249:250]
	v_add_f64 v[179:180], v[221:222], v[179:180]
	v_add_f64 v[134:135], v[233:234], v[134:135]
	v_fma_f64 v[233:234], v[35:36], s[12:13], -v[247:248]
	v_fma_f64 v[152:153], v[37:38], s[12:13], -v[152:153]
	v_fma_f64 v[247:248], v[35:36], s[12:13], v[247:248]
	v_add_f64 v[207:208], v[237:238], v[207:208]
	v_fma_f64 v[140:141], v[31:32], s[36:37], v[171:172]
	v_add_f64 v[156:157], v[156:157], v[193:194]
	v_fma_f64 v[193:194], v[29:30], s[36:37], -v[173:174]
	v_fma_f64 v[171:172], v[31:32], s[36:37], -v[171:172]
	v_fma_f64 v[173:174], v[29:30], s[36:37], v[173:174]
	v_fma_f64 v[215:216], v[37:38], s[46:47], -v[215:216]
	v_fma_f64 v[160:161], v[31:32], s[28:29], v[223:224]
	;; [unrolled: 2-line block ×3, first 2 shown]
	v_fma_f64 v[229:230], v[29:30], s[18:19], -v[253:254]
	v_fma_f64 v[142:143], v[31:32], s[18:19], -v[142:143]
	v_fma_f64 v[249:250], v[29:30], s[18:19], v[253:254]
	v_fma_f64 v[237:238], v[31:32], s[26:27], v[124:125]
	v_add_f64 v[112:113], v[128:129], v[112:113]
	v_fma_f64 v[253:254], v[31:32], s[26:27], -v[124:125]
	v_add_f64 v[124:125], v[213:214], v[177:178]
	v_fma_f64 v[128:129], v[37:38], s[26:27], v[197:198]
	v_add_f64 v[116:117], v[219:220], v[116:117]
	v_fma_f64 v[177:178], v[35:36], s[26:27], -v[241:242]
	v_add_f64 v[146:147], v[217:218], v[146:147]
	v_fma_f64 v[217:218], v[47:48], s[20:21], v[239:240]
	v_add_f64 v[130:131], v[164:165], v[130:131]
	v_fma_f64 v[164:165], v[47:48], s[12:13], -v[201:202]
	v_fma_f64 v[197:198], v[37:38], s[26:27], -v[197:198]
	v_add_f64 v[183:184], v[183:184], v[185:186]
	v_fma_f64 v[185:186], v[37:38], s[36:37], v[167:168]
	v_add_f64 v[158:159], v[158:159], v[108:109]
	v_fma_f64 v[195:196], v[59:60], s[46:47], v[195:196]
	v_add_f64 v[120:121], v[120:121], v[169:170]
	v_add_f64 v[5:6], v[211:212], v[5:6]
	;; [unrolled: 1-line block ×6, first 2 shown]
	v_fma_f64 v[251:252], v[29:30], s[26:27], -v[245:246]
	v_fma_f64 v[245:246], v[29:30], s[26:27], v[245:246]
	v_add_f64 v[11:12], v[187:188], v[11:12]
	v_add_f64 v[148:149], v[243:244], v[179:180]
	;; [unrolled: 1-line block ×20, first 2 shown]
	v_fma_f64 v[5:6], v[138:139], s[46:47], -v[175:176]
	v_fma_f64 v[144:145], v[136:137], s[46:47], -v[205:206]
	v_fma_f64 v[146:147], v[138:139], s[46:47], v[175:176]
	v_add_f64 v[158:159], v[185:186], v[162:163]
	v_mul_f64 v[160:161], v[103:104], s[42:43]
	v_mul_f64 v[162:163], v[101:102], s[42:43]
	v_add_f64 v[169:170], v[195:196], v[189:190]
	v_fma_f64 v[171:172], v[47:48], s[12:13], v[201:202]
	v_mul_f64 v[103:104], v[103:104], s[52:53]
	v_mul_f64 v[101:102], v[101:102], s[52:53]
	v_fma_f64 v[239:240], v[136:137], s[46:47], v[205:206]
	v_add_f64 v[110:111], v[140:141], v[11:12]
	v_add_f64 v[128:129], v[249:250], v[148:149]
	;; [unrolled: 1-line block ×4, first 2 shown]
	v_fma_f64 v[148:149], v[136:137], s[12:13], v[235:236]
	v_fma_f64 v[152:153], v[138:139], s[12:13], -v[150:151]
	v_fma_f64 v[138:139], v[138:139], s[12:13], v[150:151]
	v_add_f64 v[7:8], v[7:8], v[97:98]
	v_fma_f64 v[136:137], v[136:137], s[12:13], -v[235:236]
	v_add_f64 v[99:100], v[225:226], v[99:100]
	v_mul_f64 v[105:106], v[41:42], s[56:57]
	v_add_f64 v[5:6], v[1:2], v[5:6]
	v_add_f64 v[144:145], v[3:4], v[144:145]
	v_add_f64 v[146:147], v[1:2], v[146:147]
	v_mul_f64 v[199:200], v[49:50], s[42:43]
	v_fma_f64 v[97:98], v[93:94], s[36:37], v[160:161]
	v_fma_f64 v[175:176], v[95:96], s[36:37], -v[162:163]
	v_fma_f64 v[160:161], v[93:94], s[36:37], -v[160:161]
	v_fma_f64 v[162:163], v[95:96], s[36:37], v[162:163]
	v_add_f64 v[169:170], v[171:172], v[169:170]
	v_fma_f64 v[171:172], v[93:94], s[46:47], v[103:104]
	v_fma_f64 v[93:94], v[93:94], s[46:47], -v[103:104]
	v_fma_f64 v[103:104], v[95:96], s[46:47], -v[101:102]
	v_fma_f64 v[95:96], v[95:96], s[46:47], v[101:102]
	v_mul_f64 v[101:102], v[87:88], s[34:35]
	v_add_f64 v[173:174], v[3:4], v[239:240]
	v_add_f64 v[148:149], v[3:4], v[148:149]
	;; [unrolled: 1-line block ×4, first 2 shown]
	v_mul_f64 v[138:139], v[91:92], s[34:35]
	v_mul_f64 v[91:92], v[91:92], s[48:49]
	;; [unrolled: 1-line block ×3, first 2 shown]
	v_add_f64 v[7:8], v[7:8], v[85:86]
	v_add_f64 v[3:4], v[3:4], v[136:137]
	;; [unrolled: 1-line block ×3, first 2 shown]
	v_fma_f64 v[154:155], v[45:46], s[12:13], -v[154:155]
	v_fma_f64 v[187:188], v[31:32], s[46:47], v[105:106]
	v_mul_f64 v[136:137], v[41:42], s[24:25]
	v_add_f64 v[5:6], v[175:176], v[5:6]
	v_add_f64 v[144:145], v[160:161], v[144:145]
	v_mul_f64 v[160:161], v[81:82], s[22:23]
	v_add_f64 v[146:147], v[162:163], v[146:147]
	v_mul_f64 v[81:82], v[81:82], s[42:43]
	v_fma_f64 v[166:167], v[37:38], s[36:37], -v[167:168]
	v_mul_f64 v[203:204], v[43:44], s[56:57]
	v_fma_f64 v[219:220], v[35:36], s[26:27], v[241:242]
	v_fma_f64 v[162:163], v[77:78], s[26:27], -v[101:102]
	v_add_f64 v[97:98], v[97:98], v[173:174]
	v_mul_f64 v[173:174], v[83:84], s[22:23]
	v_add_f64 v[148:149], v[171:172], v[148:149]
	v_fma_f64 v[101:102], v[77:78], s[26:27], v[101:102]
	v_fma_f64 v[175:176], v[79:80], s[26:27], v[138:139]
	v_fma_f64 v[138:139], v[79:80], s[26:27], -v[138:139]
	v_mul_f64 v[83:84], v[83:84], s[42:43]
	v_add_f64 v[103:104], v[103:104], v[152:153]
	v_fma_f64 v[152:153], v[79:80], s[18:19], v[91:92]
	v_fma_f64 v[79:80], v[79:80], s[18:19], -v[91:92]
	v_fma_f64 v[91:92], v[77:78], s[18:19], -v[87:88]
	v_add_f64 v[7:8], v[7:8], v[65:66]
	v_add_f64 v[3:4], v[93:94], v[3:4]
	v_fma_f64 v[77:78], v[77:78], s[18:19], v[87:88]
	v_add_f64 v[1:2], v[95:96], v[1:2]
	v_mul_f64 v[93:94], v[73:74], s[50:51]
	v_fma_f64 v[95:96], v[71:72], s[16:17], -v[160:161]
	v_add_f64 v[67:68], v[89:90], v[67:68]
	v_mul_f64 v[65:66], v[75:76], s[50:51]
	v_mul_f64 v[75:76], v[75:76], s[38:39]
	;; [unrolled: 1-line block ×3, first 2 shown]
	v_add_f64 v[5:6], v[162:163], v[5:6]
	v_add_f64 v[154:155], v[154:155], v[231:232]
	v_fma_f64 v[87:88], v[69:70], s[16:17], v[173:174]
	v_fma_f64 v[241:242], v[35:36], s[36:37], -v[199:200]
	v_add_f64 v[101:102], v[101:102], v[146:147]
	v_add_f64 v[89:90], v[175:176], v[97:98]
	v_fma_f64 v[97:98], v[69:70], s[16:17], -v[173:174]
	v_add_f64 v[138:139], v[138:139], v[144:145]
	v_fma_f64 v[144:145], v[71:72], s[16:17], v[160:161]
	v_fma_f64 v[146:147], v[69:70], s[36:37], v[83:84]
	v_add_f64 v[148:149], v[152:153], v[148:149]
	v_fma_f64 v[152:153], v[71:72], s[36:37], -v[81:82]
	v_add_f64 v[91:92], v[91:92], v[103:104]
	v_add_f64 v[7:8], v[7:8], v[53:54]
	v_fma_f64 v[69:70], v[69:70], s[36:37], -v[83:84]
	v_add_f64 v[3:4], v[79:80], v[3:4]
	v_fma_f64 v[71:72], v[71:72], s[36:37], v[81:82]
	v_add_f64 v[1:2], v[77:78], v[1:2]
	v_mul_f64 v[79:80], v[61:62], s[44:45]
	v_fma_f64 v[81:82], v[59:60], s[20:21], -v[93:94]
	v_add_f64 v[55:56], v[67:68], v[55:56]
	v_mul_f64 v[53:54], v[63:64], s[44:45]
	v_add_f64 v[5:6], v[95:96], v[5:6]
	v_fma_f64 v[67:68], v[57:58], s[20:21], v[65:66]
	v_fma_f64 v[65:66], v[57:58], s[20:21], -v[65:66]
	v_mul_f64 v[63:64], v[63:64], s[34:35]
	v_mul_f64 v[61:62], v[61:62], s[34:35]
	v_add_f64 v[77:78], v[87:88], v[89:90]
	v_fma_f64 v[87:88], v[59:60], s[20:21], v[93:94]
	v_add_f64 v[83:84], v[97:98], v[138:139]
	v_add_f64 v[89:90], v[144:145], v[101:102]
	v_fma_f64 v[93:94], v[57:58], s[28:29], v[75:76]
	v_add_f64 v[95:96], v[146:147], v[148:149]
	v_fma_f64 v[97:98], v[59:60], s[28:29], -v[73:74]
	v_add_f64 v[91:92], v[152:153], v[91:92]
	v_add_f64 v[7:8], v[7:8], v[33:34]
	v_fma_f64 v[57:58], v[57:58], s[28:29], -v[75:76]
	v_add_f64 v[3:4], v[69:70], v[3:4]
	v_fma_f64 v[59:60], v[59:60], s[28:29], v[73:74]
	v_add_f64 v[1:2], v[71:72], v[1:2]
	v_mul_f64 v[69:70], v[49:50], s[40:41]
	v_fma_f64 v[71:72], v[47:48], s[28:29], -v[79:80]
	v_add_f64 v[39:40], v[55:56], v[39:40]
	v_mul_f64 v[33:34], v[51:52], s[40:41]
	v_add_f64 v[5:6], v[81:82], v[5:6]
	v_fma_f64 v[55:56], v[45:46], s[28:29], v[53:54]
	v_fma_f64 v[53:54], v[45:46], s[28:29], -v[53:54]
	v_fma_f64 v[73:74], v[47:48], s[28:29], v[79:80]
	v_mul_f64 v[51:52], v[51:52], s[24:25]
	v_add_f64 v[67:68], v[67:68], v[77:78]
	v_fma_f64 v[77:78], v[45:46], s[26:27], v[63:64]
	v_add_f64 v[65:66], v[65:66], v[83:84]
	v_add_f64 v[75:76], v[87:88], v[89:90]
	v_mul_f64 v[49:50], v[49:50], s[24:25]
	v_add_f64 v[79:80], v[93:94], v[95:96]
	v_fma_f64 v[81:82], v[47:48], s[26:27], -v[61:62]
	v_add_f64 v[83:84], v[97:98], v[91:92]
	v_add_f64 v[7:8], v[7:8], v[25:26]
	v_fma_f64 v[45:46], v[45:46], s[26:27], -v[63:64]
	v_add_f64 v[3:4], v[57:58], v[3:4]
	v_mul_f64 v[57:58], v[43:44], s[30:31]
	v_add_f64 v[1:2], v[59:60], v[1:2]
	v_fma_f64 v[59:60], v[35:36], s[18:19], -v[69:70]
	v_fma_f64 v[47:48], v[47:48], s[26:27], v[61:62]
	v_add_f64 v[27:28], v[39:40], v[27:28]
	v_fma_f64 v[39:40], v[37:38], s[18:19], v[33:34]
	v_add_f64 v[5:6], v[71:72], v[5:6]
	v_fma_f64 v[33:34], v[37:38], s[18:19], -v[33:34]
	v_fma_f64 v[61:62], v[35:36], s[18:19], v[69:70]
	v_mul_f64 v[25:26], v[41:42], s[30:31]
	v_mul_f64 v[41:42], v[41:42], s[22:23]
	v_add_f64 v[55:56], v[55:56], v[67:68]
	v_add_f64 v[11:12], v[187:188], v[179:180]
	v_add_f64 v[53:54], v[53:54], v[65:66]
	v_add_f64 v[63:64], v[73:74], v[75:76]
	v_fma_f64 v[65:66], v[37:38], s[20:21], v[51:52]
	v_add_f64 v[67:68], v[77:78], v[79:80]
	v_fma_f64 v[69:70], v[35:36], s[20:21], -v[49:50]
	v_add_f64 v[71:72], v[81:82], v[83:84]
	v_add_f64 v[7:8], v[7:8], v[21:22]
	v_fma_f64 v[37:38], v[37:38], s[20:21], -v[51:52]
	v_add_f64 v[3:4], v[45:46], v[3:4]
	v_fma_f64 v[51:52], v[29:30], s[12:13], -v[57:58]
	v_mul_f64 v[99:100], v[43:44], s[24:25]
	v_fma_f64 v[179:180], v[35:36], s[36:37], v[199:200]
	v_mul_f64 v[43:44], v[43:44], s[22:23]
	v_add_f64 v[23:24], v[27:28], v[23:24]
	v_fma_f64 v[35:36], v[35:36], s[20:21], v[49:50]
	v_add_f64 v[5:6], v[59:60], v[5:6]
	v_add_f64 v[1:2], v[47:48], v[1:2]
	v_fma_f64 v[21:22], v[31:32], s[20:21], -v[136:137]
	v_add_f64 v[27:28], v[166:167], v[154:155]
	v_fma_f64 v[49:50], v[31:32], s[12:13], v[25:26]
	v_add_f64 v[39:40], v[39:40], v[55:56]
	v_fma_f64 v[59:60], v[31:32], s[16:17], v[41:42]
	;; [unrolled: 2-line block ×3, first 2 shown]
	v_add_f64 v[57:58], v[61:62], v[63:64]
	v_add_f64 v[61:62], v[65:66], v[67:68]
	v_fma_f64 v[41:42], v[31:32], s[16:17], -v[41:42]
	v_add_f64 v[65:66], v[69:70], v[71:72]
	v_mad_u64_u32 v[71:72], null, s0, v107, 0
	v_add_f64 v[7:8], v[7:8], v[17:18]
	v_add_f64 v[37:38], v[37:38], v[3:4]
	v_fma_f64 v[213:214], v[29:30], s[46:47], -v[203:204]
	v_fma_f64 v[55:56], v[31:32], s[12:13], -v[25:26]
	;; [unrolled: 1-line block ×3, first 2 shown]
	v_add_f64 v[69:70], v[23:24], v[19:20]
	v_fma_f64 v[43:44], v[29:30], s[16:17], v[43:44]
	v_add_f64 v[25:26], v[51:52], v[5:6]
	v_mov_b32_e32 v5, v72
	v_add_f64 v[67:68], v[35:36], v[1:2]
	v_fma_f64 v[45:46], v[29:30], s[20:21], v[99:100]
	v_add_f64 v[47:48], v[179:180], v[169:170]
	v_add_f64 v[23:24], v[21:22], v[27:28]
	v_mad_u64_u32 v[5:6], null, s1, v107, v[5:6]
	s_lshl_b64 s[0:1], s[10:11], 4
	v_mov_b32_e32 v6, 0
	s_add_u32 s3, s4, s0
	s_addc_u32 s4, s5, s1
	s_lshl_b64 s[0:1], s[6:7], 4
	v_add_f64 v[27:28], v[49:50], v[39:40]
	v_mov_b32_e32 v72, v5
	v_mul_lo_u32 v5, v0, s2
	s_add_u32 s3, s3, s0
	s_addc_u32 s4, s4, s1
	s_lshl_b64 s[0:1], s[8:9], 4
	v_add_f64 v[13:14], v[7:8], v[13:14]
	v_lshlrev_b64 v[7:8], 4, v[71:72]
	s_add_u32 s3, s3, s0
	s_mul_i32 s0, s2, 17
	v_add_f64 v[39:40], v[41:42], v[37:38]
	v_lshlrev_b64 v[41:42], 4, v[5:6]
	v_add_nc_u32_e32 v5, s0, v5
	v_add_f64 v[9:10], v[213:214], v[177:178]
	v_add_f64 v[150:151], v[219:220], v[207:208]
	v_fma_f64 v[105:106], v[31:32], s[46:47], -v[105:106]
	v_fma_f64 v[177:178], v[29:30], s[46:47], v[203:204]
	v_add_f64 v[15:16], v[69:70], v[15:16]
	s_addc_u32 s1, s4, s1
	v_add_co_u32 v49, vcc_lo, s3, v7
	v_fma_f64 v[223:224], v[31:32], s[28:29], -v[223:224]
	v_fma_f64 v[227:228], v[29:30], s[28:29], v[227:228]
	v_add_f64 v[37:38], v[43:44], v[67:68]
	v_fma_f64 v[85:86], v[31:32], s[20:21], v[136:137]
	v_fma_f64 v[171:172], v[29:30], s[20:21], -v[99:100]
	v_add_f64 v[31:32], v[55:56], v[33:34]
	v_add_f64 v[29:30], v[53:54], v[57:58]
	v_add_co_ci_u32_e32 v50, vcc_lo, s1, v8, vcc_lo
	v_lshlrev_b64 v[7:8], 4, v[5:6]
	v_add_nc_u32_e32 v5, s0, v5
	v_add_f64 v[21:22], v[45:46], v[47:48]
	v_add_co_u32 v41, vcc_lo, v49, v41
	v_add_co_ci_u32_e32 v42, vcc_lo, v50, v42, vcc_lo
	v_lshlrev_b64 v[43:44], 4, v[5:6]
	v_add_nc_u32_e32 v5, s0, v5
	v_add_co_u32 v7, vcc_lo, v49, v7
	v_add_co_ci_u32_e32 v8, vcc_lo, v50, v8, vcc_lo
	v_lshlrev_b64 v[45:46], 4, v[5:6]
	v_add_nc_u32_e32 v5, s0, v5
	;; [unrolled: 4-line block ×3, first 2 shown]
	v_add_co_u32 v45, vcc_lo, v49, v45
	v_add_f64 v[3:4], v[105:106], v[164:165]
	v_add_f64 v[1:2], v[177:178], v[150:151]
	v_add_co_ci_u32_e32 v46, vcc_lo, v50, v46, vcc_lo
	v_add_f64 v[134:135], v[253:254], v[134:135]
	global_store_dwordx4 v[41:42], v[13:16], off
	global_store_dwordx4 v[7:8], v[37:40], off
	;; [unrolled: 1-line block ×4, first 2 shown]
	v_lshlrev_b64 v[7:8], 4, v[5:6]
	v_add_nc_u32_e32 v5, s0, v5
	v_add_f64 v[122:123], v[223:224], v[215:216]
	v_add_f64 v[120:121], v[227:228], v[120:121]
	v_add_co_u32 v13, vcc_lo, v49, v47
	v_lshlrev_b64 v[15:16], 4, v[5:6]
	v_add_nc_u32_e32 v5, s0, v5
	v_add_co_ci_u32_e32 v14, vcc_lo, v50, v48, vcc_lo
	v_add_co_u32 v7, vcc_lo, v49, v7
	v_lshlrev_b64 v[21:22], 4, v[5:6]
	v_add_nc_u32_e32 v5, s0, v5
	v_add_co_ci_u32_e32 v8, vcc_lo, v50, v8, vcc_lo
	v_add_co_u32 v15, vcc_lo, v49, v15
	v_add_co_ci_u32_e32 v16, vcc_lo, v50, v16, vcc_lo
	v_lshlrev_b64 v[23:24], 4, v[5:6]
	v_add_nc_u32_e32 v5, s0, v5
	v_add_co_u32 v21, vcc_lo, v49, v21
	v_add_co_ci_u32_e32 v22, vcc_lo, v50, v22, vcc_lo
	global_store_dwordx4 v[13:14], v[1:4], off
	global_store_dwordx4 v[7:8], v[132:135], off
	global_store_dwordx4 v[15:16], v[128:131], off
	global_store_dwordx4 v[21:22], v[120:123], off
	v_lshlrev_b64 v[0:1], 4, v[5:6]
	v_add_nc_u32_e32 v5, s0, v5
	v_add_f64 v[156:157], v[241:242], v[156:157]
	v_add_co_u32 v2, vcc_lo, v49, v23
	v_add_co_ci_u32_e32 v3, vcc_lo, v50, v24, vcc_lo
	v_lshlrev_b64 v[7:8], 4, v[5:6]
	v_add_nc_u32_e32 v5, s0, v5
	v_add_co_u32 v0, vcc_lo, v49, v0
	v_add_co_ci_u32_e32 v1, vcc_lo, v50, v1, vcc_lo
	v_lshlrev_b64 v[13:14], 4, v[5:6]
	v_add_nc_u32_e32 v5, s0, v5
	;; [unrolled: 4-line block ×3, first 2 shown]
	v_add_co_u32 v13, vcc_lo, v49, v13
	v_add_co_ci_u32_e32 v14, vcc_lo, v50, v14, vcc_lo
	global_store_dwordx4 v[2:3], v[112:115], off
	global_store_dwordx4 v[0:1], v[108:111], off
	;; [unrolled: 1-line block ×4, first 2 shown]
	v_lshlrev_b64 v[0:1], 4, v[5:6]
	v_add_nc_u32_e32 v5, s0, v5
	v_add_f64 v[19:20], v[85:86], v[158:159]
	v_add_f64 v[17:18], v[171:172], v[156:157]
	;; [unrolled: 1-line block ×4, first 2 shown]
	v_lshlrev_b64 v[7:8], 4, v[5:6]
	v_add_nc_u32_e32 v5, s0, v5
	v_add_co_u32 v2, vcc_lo, v49, v15
	v_add_co_ci_u32_e32 v3, vcc_lo, v50, v16, vcc_lo
	v_lshlrev_b64 v[13:14], 4, v[5:6]
	v_add_nc_u32_e32 v5, s0, v5
	v_add_co_u32 v0, vcc_lo, v49, v0
	v_add_co_ci_u32_e32 v1, vcc_lo, v50, v1, vcc_lo
	v_add_co_u32 v7, vcc_lo, v49, v7
	v_lshlrev_b64 v[4:5], 4, v[5:6]
	v_add_co_ci_u32_e32 v8, vcc_lo, v50, v8, vcc_lo
	v_add_co_u32 v13, vcc_lo, v49, v13
	v_add_co_ci_u32_e32 v14, vcc_lo, v50, v14, vcc_lo
	v_add_co_u32 v4, vcc_lo, v49, v4
	v_add_co_ci_u32_e32 v5, vcc_lo, v50, v5, vcc_lo
	global_store_dwordx4 v[2:3], v[140:143], off
	global_store_dwordx4 v[0:1], v[9:12], off
	;; [unrolled: 1-line block ×5, first 2 shown]
.LBB0_12:
	s_endpgm
	.section	.rodata,"a",@progbits
	.p2align	6, 0x0
	.amdhsa_kernel fft_rtc_back_len289_factors_17_17_wgs_119_tpt_17_dp_op_CI_CI_sbrc_xy_z_unaligned_dirReg
		.amdhsa_group_segment_fixed_size 0
		.amdhsa_private_segment_fixed_size 0
		.amdhsa_kernarg_size 104
		.amdhsa_user_sgpr_count 6
		.amdhsa_user_sgpr_private_segment_buffer 1
		.amdhsa_user_sgpr_dispatch_ptr 0
		.amdhsa_user_sgpr_queue_ptr 0
		.amdhsa_user_sgpr_kernarg_segment_ptr 1
		.amdhsa_user_sgpr_dispatch_id 0
		.amdhsa_user_sgpr_flat_scratch_init 0
		.amdhsa_user_sgpr_private_segment_size 0
		.amdhsa_wavefront_size32 1
		.amdhsa_uses_dynamic_stack 0
		.amdhsa_system_sgpr_private_segment_wavefront_offset 0
		.amdhsa_system_sgpr_workgroup_id_x 1
		.amdhsa_system_sgpr_workgroup_id_y 0
		.amdhsa_system_sgpr_workgroup_id_z 0
		.amdhsa_system_sgpr_workgroup_info 0
		.amdhsa_system_vgpr_workitem_id 0
		.amdhsa_next_free_vgpr 256
		.amdhsa_next_free_sgpr 65
		.amdhsa_reserve_vcc 1
		.amdhsa_reserve_flat_scratch 0
		.amdhsa_float_round_mode_32 0
		.amdhsa_float_round_mode_16_64 0
		.amdhsa_float_denorm_mode_32 3
		.amdhsa_float_denorm_mode_16_64 3
		.amdhsa_dx10_clamp 1
		.amdhsa_ieee_mode 1
		.amdhsa_fp16_overflow 0
		.amdhsa_workgroup_processor_mode 1
		.amdhsa_memory_ordered 1
		.amdhsa_forward_progress 0
		.amdhsa_shared_vgpr_count 0
		.amdhsa_exception_fp_ieee_invalid_op 0
		.amdhsa_exception_fp_denorm_src 0
		.amdhsa_exception_fp_ieee_div_zero 0
		.amdhsa_exception_fp_ieee_overflow 0
		.amdhsa_exception_fp_ieee_underflow 0
		.amdhsa_exception_fp_ieee_inexact 0
		.amdhsa_exception_int_div_zero 0
	.end_amdhsa_kernel
	.text
.Lfunc_end0:
	.size	fft_rtc_back_len289_factors_17_17_wgs_119_tpt_17_dp_op_CI_CI_sbrc_xy_z_unaligned_dirReg, .Lfunc_end0-fft_rtc_back_len289_factors_17_17_wgs_119_tpt_17_dp_op_CI_CI_sbrc_xy_z_unaligned_dirReg
                                        ; -- End function
	.section	.AMDGPU.csdata,"",@progbits
; Kernel info:
; codeLenInByte = 17176
; NumSgprs: 67
; NumVgprs: 256
; ScratchSize: 0
; MemoryBound: 0
; FloatMode: 240
; IeeeMode: 1
; LDSByteSize: 0 bytes/workgroup (compile time only)
; SGPRBlocks: 8
; VGPRBlocks: 31
; NumSGPRsForWavesPerEU: 67
; NumVGPRsForWavesPerEU: 256
; Occupancy: 4
; WaveLimiterHint : 1
; COMPUTE_PGM_RSRC2:SCRATCH_EN: 0
; COMPUTE_PGM_RSRC2:USER_SGPR: 6
; COMPUTE_PGM_RSRC2:TRAP_HANDLER: 0
; COMPUTE_PGM_RSRC2:TGID_X_EN: 1
; COMPUTE_PGM_RSRC2:TGID_Y_EN: 0
; COMPUTE_PGM_RSRC2:TGID_Z_EN: 0
; COMPUTE_PGM_RSRC2:TIDIG_COMP_CNT: 0
	.text
	.p2alignl 6, 3214868480
	.fill 48, 4, 3214868480
	.type	__hip_cuid_91e4e94bc1c791d7,@object ; @__hip_cuid_91e4e94bc1c791d7
	.section	.bss,"aw",@nobits
	.globl	__hip_cuid_91e4e94bc1c791d7
__hip_cuid_91e4e94bc1c791d7:
	.byte	0                               ; 0x0
	.size	__hip_cuid_91e4e94bc1c791d7, 1

	.ident	"AMD clang version 19.0.0git (https://github.com/RadeonOpenCompute/llvm-project roc-6.4.0 25133 c7fe45cf4b819c5991fe208aaa96edf142730f1d)"
	.section	".note.GNU-stack","",@progbits
	.addrsig
	.addrsig_sym __hip_cuid_91e4e94bc1c791d7
	.amdgpu_metadata
---
amdhsa.kernels:
  - .args:
      - .actual_access:  read_only
        .address_space:  global
        .offset:         0
        .size:           8
        .value_kind:     global_buffer
      - .offset:         8
        .size:           8
        .value_kind:     by_value
      - .actual_access:  read_only
        .address_space:  global
        .offset:         16
        .size:           8
        .value_kind:     global_buffer
      - .actual_access:  read_only
        .address_space:  global
        .offset:         24
        .size:           8
        .value_kind:     global_buffer
      - .actual_access:  read_only
        .address_space:  global
        .offset:         32
        .size:           8
        .value_kind:     global_buffer
      - .offset:         40
        .size:           8
        .value_kind:     by_value
      - .actual_access:  read_only
        .address_space:  global
        .offset:         48
        .size:           8
        .value_kind:     global_buffer
      - .actual_access:  read_only
        .address_space:  global
        .offset:         56
        .size:           8
        .value_kind:     global_buffer
      - .offset:         64
        .size:           4
        .value_kind:     by_value
      - .actual_access:  read_only
        .address_space:  global
        .offset:         72
        .size:           8
        .value_kind:     global_buffer
      - .actual_access:  read_only
        .address_space:  global
        .offset:         80
        .size:           8
        .value_kind:     global_buffer
      - .actual_access:  read_only
        .address_space:  global
        .offset:         88
        .size:           8
        .value_kind:     global_buffer
      - .actual_access:  write_only
        .address_space:  global
        .offset:         96
        .size:           8
        .value_kind:     global_buffer
    .group_segment_fixed_size: 0
    .kernarg_segment_align: 8
    .kernarg_segment_size: 104
    .language:       OpenCL C
    .language_version:
      - 2
      - 0
    .max_flat_workgroup_size: 119
    .name:           fft_rtc_back_len289_factors_17_17_wgs_119_tpt_17_dp_op_CI_CI_sbrc_xy_z_unaligned_dirReg
    .private_segment_fixed_size: 0
    .sgpr_count:     67
    .sgpr_spill_count: 0
    .symbol:         fft_rtc_back_len289_factors_17_17_wgs_119_tpt_17_dp_op_CI_CI_sbrc_xy_z_unaligned_dirReg.kd
    .uniform_work_group_size: 1
    .uses_dynamic_stack: false
    .vgpr_count:     256
    .vgpr_spill_count: 0
    .wavefront_size: 32
    .workgroup_processor_mode: 1
amdhsa.target:   amdgcn-amd-amdhsa--gfx1030
amdhsa.version:
  - 1
  - 2
...

	.end_amdgpu_metadata
